;; amdgpu-corpus repo=ROCm/rocFFT kind=compiled arch=gfx950 opt=O3
	.text
	.amdgcn_target "amdgcn-amd-amdhsa--gfx950"
	.amdhsa_code_object_version 6
	.protected	bluestein_single_back_len1200_dim1_dp_op_CI_CI ; -- Begin function bluestein_single_back_len1200_dim1_dp_op_CI_CI
	.globl	bluestein_single_back_len1200_dim1_dp_op_CI_CI
	.p2align	8
	.type	bluestein_single_back_len1200_dim1_dp_op_CI_CI,@function
bluestein_single_back_len1200_dim1_dp_op_CI_CI: ; @bluestein_single_back_len1200_dim1_dp_op_CI_CI
; %bb.0:
	s_load_dwordx4 s[12:15], s[0:1], 0x28
	v_mul_u32_u24_e32 v1, 0x36a, v0
	v_lshrrev_b32_e32 v2, 16, v1
	v_mad_u64_u32 v[72:73], s[2:3], s2, 3, v[2:3]
	v_mov_b32_e32 v95, 0
	v_mov_b32_e32 v73, v95
	s_waitcnt lgkmcnt(0)
	v_cmp_gt_u64_e32 vcc, s[12:13], v[72:73]
	s_and_saveexec_b64 s[2:3], vcc
	s_cbranch_execz .LBB0_31
; %bb.1:
	s_load_dwordx4 s[4:7], s[0:1], 0x18
	s_load_dwordx2 s[12:13], s[0:1], 0x0
	v_mul_lo_u16_e32 v1, 0x4b, v2
	v_sub_u16_e32 v94, v0, v1
	v_mov_b32_e32 v4, s14
	s_waitcnt lgkmcnt(0)
	s_load_dwordx4 s[8:11], s[4:5], 0x0
	v_mov_b32_e32 v5, s15
	v_lshlrev_b32_e32 v30, 4, v94
	v_mov_b32_e32 v31, v95
	global_load_dwordx4 v[104:107], v30, s[12:13]
	s_waitcnt lgkmcnt(0)
	v_mad_u64_u32 v[0:1], s[2:3], s10, v72, 0
	v_mov_b32_e32 v2, v1
	v_mad_u64_u32 v[2:3], s[2:3], s11, v72, v[2:3]
	v_mov_b32_e32 v1, v2
	;; [unrolled: 2-line block ×3, first 2 shown]
	v_mad_u64_u32 v[6:7], s[2:3], s9, v94, v[6:7]
	s_mul_i32 s2, s9, 0xf0
	s_mul_hi_u32 s3, s8, 0xf0
	v_mov_b32_e32 v3, v6
	v_lshl_add_u64 v[0:1], v[0:1], 4, v[4:5]
	s_add_i32 s3, s3, s2
	s_mul_i32 s2, s8, 0xf0
	v_lshl_add_u64 v[8:9], v[2:3], 4, v[0:1]
	v_lshl_add_u64 v[52:53], s[12:13], 0, v[30:31]
	s_lshl_b64 s[2:3], s[2:3], 4
	s_movk_i32 s4, 0x1000
	v_lshl_add_u64 v[10:11], v[8:9], 0, s[2:3]
	global_load_dwordx4 v[4:7], v[8:9], off
	global_load_dwordx4 v[0:3], v[10:11], off
	global_load_dwordx4 v[76:79], v30, s[12:13] offset:3840
	v_add_co_u32_e32 v26, vcc, s4, v52
	v_lshl_add_u64 v[12:13], v[10:11], 0, s[2:3]
	s_nop 0
	v_addc_co_u32_e32 v27, vcc, 0, v53, vcc
	s_movk_i32 s4, 0x2000
	global_load_dwordx4 v[8:11], v[12:13], off
	global_load_dwordx4 v[84:87], v[26:27], off offset:3584
	v_add_co_u32_e32 v24, vcc, s4, v52
	v_lshl_add_u64 v[16:17], v[12:13], 0, s[2:3]
	s_nop 0
	v_addc_co_u32_e32 v25, vcc, 0, v53, vcc
	global_load_dwordx4 v[80:83], v[24:25], off offset:3328
	s_movk_i32 s4, 0x3000
	s_mul_hi_u32 s5, s8, 0xfffffc8b
	global_load_dwordx4 v[12:15], v[16:17], off
	v_add_co_u32_e32 v28, vcc, s4, v52
	s_mul_i32 s4, s9, 0xfffffc8b
	s_sub_i32 s5, s5, s8
	v_lshl_add_u64 v[20:21], v[16:17], 0, s[2:3]
	v_addc_co_u32_e32 v29, vcc, 0, v53, vcc
	s_add_i32 s11, s5, s4
	s_mul_i32 s10, s8, 0xfffffc8b
	global_load_dwordx4 v[16:19], v[20:21], off
	global_load_dwordx4 v[88:91], v[28:29], off offset:3072
	s_lshl_b64 s[4:5], s[10:11], 4
	v_lshl_add_u64 v[32:33], v[20:21], 0, s[4:5]
	global_load_dwordx4 v[20:23], v[32:33], off
	global_load_dwordx4 v[96:99], v30, s[12:13] offset:1200
	v_lshl_add_u64 v[32:33], v[32:33], 0, s[2:3]
	global_load_dwordx4 v[36:39], v[32:33], off
	global_load_dwordx4 v[100:103], v[26:27], off offset:944
	v_lshl_add_u64 v[32:33], v[32:33], 0, s[2:3]
	global_load_dwordx4 v[40:43], v[32:33], off
	global_load_dwordx4 v[112:115], v[24:25], off offset:688
	v_lshl_add_u64 v[32:33], v[32:33], 0, s[2:3]
	s_movk_i32 s8, 0x4000
	global_load_dwordx4 v[44:47], v[32:33], off
	global_load_dwordx4 v[108:111], v[28:29], off offset:432
	v_lshl_add_u64 v[34:35], v[32:33], 0, s[2:3]
	v_add_co_u32_e32 v32, vcc, s8, v52
	global_load_dwordx4 v[48:51], v[34:35], off
	s_nop 0
	v_addc_co_u32_e32 v33, vcc, 0, v53, vcc
	global_load_dwordx4 v[116:119], v[32:33], off offset:176
	v_accvgpr_write_b32 a0, v52
	v_lshl_add_u64 v[34:35], v[34:35], 0, s[4:5]
	v_accvgpr_write_b32 a1, v53
	global_load_dwordx4 v[52:55], v[34:35], off
	global_load_dwordx4 v[120:123], v30, s[12:13] offset:2400
	v_lshl_add_u64 v[34:35], v[34:35], 0, s[2:3]
	global_load_dwordx4 v[56:59], v[34:35], off
	global_load_dwordx4 v[124:127], v[26:27], off offset:2144
	v_lshl_add_u64 v[34:35], v[34:35], 0, s[2:3]
	global_load_dwordx4 v[60:63], v[34:35], off
	global_load_dwordx4 v[128:131], v[24:25], off offset:1888
	v_lshl_add_u64 v[34:35], v[34:35], 0, s[2:3]
	global_load_dwordx4 v[64:67], v[34:35], off
	global_load_dwordx4 v[132:135], v[28:29], off offset:1632
	v_lshl_add_u64 v[34:35], v[34:35], 0, s[2:3]
	global_load_dwordx4 v[68:71], v[34:35], off
	global_load_dwordx4 v[136:139], v[32:33], off offset:1376
	s_mov_b32 s14, 0xaaaaaaab
	v_mul_hi_u32 v31, v72, s14
	v_lshrrev_b32_e32 v31, 1, v31
	v_lshl_add_u32 v31, v31, 1, v31
	v_accvgpr_write_b32 a64, v72
	v_sub_u32_e32 v31, v72, v31
	v_mul_u32_u24_e32 v31, 0x4b0, v31
	v_lshlrev_b32_e32 v212, 4, v31
	v_add_u32_e32 v92, v30, v212
	s_load_dwordx2 s[8:9], s[0:1], 0x38
	s_waitcnt vmcnt(29)
	v_accvgpr_write_b32 a28, v104
	s_load_dwordx4 s[4:7], s[6:7], 0x0
	v_accvgpr_write_b32 a29, v105
	v_accvgpr_write_b32 a30, v106
	v_accvgpr_write_b32 a31, v107
	v_cmp_gt_u16_e32 vcc, 15, v94
	s_waitcnt vmcnt(28)
	v_mul_f64 v[72:73], v[6:7], v[106:107]
	v_fmac_f64_e32 v[72:73], v[4:5], v[104:105]
	v_mul_f64 v[4:5], v[4:5], v[106:107]
	v_fma_f64 v[74:75], v[6:7], v[104:105], -v[4:5]
	s_waitcnt vmcnt(26)
	v_mul_f64 v[4:5], v[2:3], v[78:79]
	v_fmac_f64_e32 v[4:5], v[0:1], v[76:77]
	v_mul_f64 v[0:1], v[0:1], v[78:79]
	v_fma_f64 v[6:7], v[2:3], v[76:77], -v[0:1]
	v_accvgpr_write_b32 a2, v76
	v_accvgpr_write_b32 a3, v77
	s_waitcnt vmcnt(24)
	v_mul_f64 v[0:1], v[10:11], v[86:87]
	v_mul_f64 v[2:3], v[8:9], v[86:87]
	v_fmac_f64_e32 v[0:1], v[8:9], v[84:85]
	v_fma_f64 v[2:3], v[10:11], v[84:85], -v[2:3]
	ds_write_b128 v92, v[0:3] offset:7680
	v_accvgpr_write_b32 a12, v84
	s_waitcnt vmcnt(23)
	v_accvgpr_write_b32 a6, v80
	v_accvgpr_write_b32 a4, v78
	;; [unrolled: 1-line block ×3, first 2 shown]
	s_waitcnt vmcnt(22)
	v_mul_f64 v[0:1], v[14:15], v[82:83]
	v_mul_f64 v[2:3], v[12:13], v[82:83]
	v_fmac_f64_e32 v[0:1], v[12:13], v[80:81]
	v_fma_f64 v[2:3], v[14:15], v[80:81], -v[2:3]
	ds_write_b128 v92, v[0:3] offset:11520
	v_accvgpr_write_b32 a13, v85
	v_accvgpr_write_b32 a14, v86
	;; [unrolled: 1-line block ×6, first 2 shown]
	s_waitcnt vmcnt(20)
	v_mul_f64 v[0:1], v[18:19], v[90:91]
	v_mul_f64 v[2:3], v[16:17], v[90:91]
	v_fmac_f64_e32 v[0:1], v[16:17], v[88:89]
	v_fma_f64 v[2:3], v[18:19], v[88:89], -v[2:3]
	ds_write_b128 v92, v[0:3] offset:15360
	s_waitcnt vmcnt(18)
	v_mul_f64 v[0:1], v[22:23], v[98:99]
	v_mul_f64 v[2:3], v[20:21], v[98:99]
	v_fmac_f64_e32 v[0:1], v[20:21], v[96:97]
	v_fma_f64 v[2:3], v[22:23], v[96:97], -v[2:3]
	ds_write_b128 v92, v[0:3] offset:1200
	;; [unrolled: 6-line block ×9, first 2 shown]
	s_waitcnt vmcnt(2)
	v_mul_f64 v[0:1], v[66:67], v[134:135]
	v_mul_f64 v[2:3], v[64:65], v[134:135]
	v_fmac_f64_e32 v[0:1], v[64:65], v[132:133]
	v_fma_f64 v[2:3], v[66:67], v[132:133], -v[2:3]
	v_accvgpr_write_b32 a16, v88
	v_accvgpr_write_b32 a20, v96
	;; [unrolled: 1-line block ×10, first 2 shown]
	ds_write_b128 v92, v[0:3] offset:13920
	s_waitcnt vmcnt(0)
	v_mul_f64 v[0:1], v[70:71], v[138:139]
	v_mul_f64 v[2:3], v[68:69], v[138:139]
	v_accvgpr_write_b32 a60, v136
	v_accvgpr_write_b32 a17, v89
	;; [unrolled: 1-line block ×31, first 2 shown]
	v_fmac_f64_e32 v[0:1], v[68:69], v[136:137]
	v_accvgpr_write_b32 a61, v137
	v_accvgpr_write_b32 a62, v138
	v_accvgpr_write_b32 a63, v139
	v_fma_f64 v[2:3], v[70:71], v[136:137], -v[2:3]
	ds_write_b128 v92, v[72:75]
	ds_write_b128 v92, v[4:7] offset:3840
	ds_write_b128 v92, v[0:3] offset:17760
	s_and_saveexec_b64 s[14:15], vcc
	s_cbranch_execz .LBB0_3
; %bb.2:
	v_lshl_add_u64 v[12:13], s[10:11], 4, v[34:35]
	v_accvgpr_read_b32 v5, a1
	v_accvgpr_read_b32 v4, a0
	v_lshl_add_u64 v[16:17], v[12:13], 0, s[2:3]
	global_load_dwordx4 v[0:3], v[12:13], off
	s_nop 0
	global_load_dwordx4 v[4:7], v[4:5], off offset:3600
	s_nop 0
	global_load_dwordx4 v[8:11], v[26:27], off offset:3344
	v_lshl_add_u64 v[26:27], v[16:17], 0, s[2:3]
	global_load_dwordx4 v[12:15], v[16:17], off
	v_lshl_add_u64 v[38:39], v[26:27], 0, s[2:3]
	global_load_dwordx4 v[16:19], v[26:27], off
	global_load_dwordx4 v[20:23], v[24:25], off offset:3088
	global_load_dwordx4 v[34:37], v[28:29], off offset:2832
	s_nop 0
	global_load_dwordx4 v[24:27], v[38:39], off
	global_load_dwordx4 v[28:31], v[32:33], off offset:2576
	v_lshl_add_u64 v[32:33], v[38:39], 0, s[2:3]
	global_load_dwordx4 v[38:41], v[32:33], off
	s_waitcnt vmcnt(8)
	v_mul_f64 v[42:43], v[2:3], v[6:7]
	v_mul_f64 v[6:7], v[0:1], v[6:7]
	v_fmac_f64_e32 v[42:43], v[0:1], v[4:5]
	v_fma_f64 v[44:45], v[2:3], v[4:5], -v[6:7]
	s_waitcnt vmcnt(6)
	v_mul_f64 v[0:1], v[14:15], v[10:11]
	v_mul_f64 v[2:3], v[12:13], v[10:11]
	s_waitcnt vmcnt(4)
	v_mul_f64 v[4:5], v[18:19], v[22:23]
	v_mul_f64 v[6:7], v[16:17], v[22:23]
	v_fmac_f64_e32 v[0:1], v[12:13], v[8:9]
	v_fma_f64 v[2:3], v[14:15], v[8:9], -v[2:3]
	v_fmac_f64_e32 v[4:5], v[16:17], v[20:21]
	v_fma_f64 v[6:7], v[18:19], v[20:21], -v[6:7]
	ds_write_b128 v92, v[0:3] offset:7440
	s_waitcnt vmcnt(2)
	v_mul_f64 v[0:1], v[26:27], v[36:37]
	v_mul_f64 v[2:3], v[24:25], v[36:37]
	ds_write_b128 v92, v[4:7] offset:11280
	s_waitcnt vmcnt(0)
	v_mul_f64 v[4:5], v[40:41], v[30:31]
	v_mul_f64 v[6:7], v[38:39], v[30:31]
	v_fmac_f64_e32 v[0:1], v[24:25], v[34:35]
	v_fma_f64 v[2:3], v[26:27], v[34:35], -v[2:3]
	v_fmac_f64_e32 v[4:5], v[38:39], v[28:29]
	v_fma_f64 v[6:7], v[40:41], v[28:29], -v[6:7]
	ds_write_b128 v92, v[42:45] offset:3600
	ds_write_b128 v92, v[0:3] offset:15120
	;; [unrolled: 1-line block ×3, first 2 shown]
.LBB0_3:
	s_or_b64 exec, exec, s[14:15]
	s_waitcnt lgkmcnt(0)
	s_barrier
	ds_read_b128 v[8:11], v92
	ds_read_b128 v[4:7], v92 offset:1200
	ds_read_b128 v[42:45], v92 offset:7680
	;; [unrolled: 1-line block ×14, first 2 shown]
                                        ; implicit-def: $vgpr124_vgpr125
                                        ; implicit-def: $vgpr12_vgpr13
                                        ; implicit-def: $vgpr60_vgpr61
                                        ; implicit-def: $vgpr64_vgpr65
                                        ; implicit-def: $vgpr68_vgpr69
	s_and_saveexec_b64 s[2:3], vcc
	s_cbranch_execz .LBB0_5
; %bb.4:
	ds_read_b128 v[124:127], v92 offset:3600
	ds_read_b128 v[12:15], v92 offset:7440
	;; [unrolled: 1-line block ×5, first 2 shown]
.LBB0_5:
	s_or_b64 exec, exec, s[2:3]
	s_waitcnt lgkmcnt(8)
	v_add_f64 v[28:29], v[8:9], v[50:51]
	s_load_dwordx2 s[10:11], s[0:1], 0x8
	s_mov_b64 s[0:1], 0x4b
	v_add_f64 v[28:29], v[28:29], v[42:43]
	v_lshl_add_u64 v[196:197], v[94:95], 0, s[0:1]
	s_mov_b64 s[0:1], 0x96
	s_waitcnt lgkmcnt(0)
	v_add_f64 v[28:29], v[28:29], v[54:55]
	v_lshl_add_u64 v[194:195], v[94:95], 0, s[0:1]
	s_mov_b64 s[0:1], 0xe1
	v_add_f64 v[32:33], v[28:29], v[46:47]
	v_add_f64 v[28:29], v[42:43], v[54:55]
	s_mov_b32 s2, 0x134454ff
	v_lshl_add_u64 v[192:193], v[94:95], 0, s[0:1]
	v_fma_f64 v[28:29], -0.5, v[28:29], v[8:9]
	v_add_f64 v[30:31], v[52:53], -v[48:49]
	s_mov_b32 s3, 0x3fee6f0e
	s_mov_b32 s0, 0x4755a5e
	;; [unrolled: 1-line block ×4, first 2 shown]
	v_fma_f64 v[36:37], s[2:3], v[30:31], v[28:29]
	v_add_f64 v[34:35], v[44:45], -v[56:57]
	s_mov_b32 s1, 0x3fe2cf23
	v_add_f64 v[38:39], v[50:51], -v[42:43]
	v_add_f64 v[40:41], v[46:47], -v[54:55]
	s_mov_b32 s14, 0x372fe950
	v_fmac_f64_e32 v[28:29], s[16:17], v[30:31]
	s_mov_b32 s19, 0xbfe2cf23
	s_mov_b32 s18, s0
	v_fmac_f64_e32 v[36:37], s[0:1], v[34:35]
	v_add_f64 v[38:39], v[38:39], v[40:41]
	s_mov_b32 s15, 0x3fd3c6ef
	v_fmac_f64_e32 v[28:29], s[18:19], v[34:35]
	v_fmac_f64_e32 v[36:37], s[14:15], v[38:39]
	v_fmac_f64_e32 v[28:29], s[14:15], v[38:39]
	v_add_f64 v[38:39], v[50:51], v[46:47]
	v_fmac_f64_e32 v[8:9], -0.5, v[38:39]
	v_fma_f64 v[40:41], s[16:17], v[34:35], v[8:9]
	v_fmac_f64_e32 v[8:9], s[2:3], v[34:35]
	v_fmac_f64_e32 v[40:41], s[0:1], v[30:31]
	;; [unrolled: 1-line block ×3, first 2 shown]
	v_add_f64 v[30:31], v[10:11], v[52:53]
	v_add_f64 v[30:31], v[30:31], v[44:45]
	v_add_f64 v[30:31], v[30:31], v[56:57]
	v_add_f64 v[38:39], v[42:43], -v[50:51]
	v_add_f64 v[58:59], v[54:55], -v[46:47]
	v_add_f64 v[34:35], v[30:31], v[48:49]
	v_add_f64 v[30:31], v[44:45], v[56:57]
	v_add_f64 v[38:39], v[38:39], v[58:59]
	v_fma_f64 v[30:31], -0.5, v[30:31], v[10:11]
	v_add_f64 v[46:47], v[50:51], -v[46:47]
	v_fmac_f64_e32 v[40:41], s[14:15], v[38:39]
	v_fmac_f64_e32 v[8:9], s[14:15], v[38:39]
	v_fma_f64 v[38:39], s[16:17], v[46:47], v[30:31]
	v_add_f64 v[50:51], v[42:43], -v[54:55]
	v_add_f64 v[42:43], v[52:53], -v[44:45]
	;; [unrolled: 1-line block ×3, first 2 shown]
	v_fmac_f64_e32 v[30:31], s[2:3], v[46:47]
	v_fmac_f64_e32 v[38:39], s[18:19], v[50:51]
	v_add_f64 v[42:43], v[42:43], v[54:55]
	v_fmac_f64_e32 v[30:31], s[0:1], v[50:51]
	v_fmac_f64_e32 v[38:39], s[14:15], v[42:43]
	;; [unrolled: 1-line block ×3, first 2 shown]
	v_add_f64 v[42:43], v[52:53], v[48:49]
	v_fmac_f64_e32 v[10:11], -0.5, v[42:43]
	v_fma_f64 v[42:43], s[2:3], v[50:51], v[10:11]
	v_add_f64 v[44:45], v[44:45], -v[52:53]
	v_add_f64 v[48:49], v[56:57], -v[48:49]
	v_fmac_f64_e32 v[10:11], s[16:17], v[50:51]
	v_fmac_f64_e32 v[42:43], s[18:19], v[46:47]
	v_add_f64 v[44:45], v[44:45], v[48:49]
	v_fmac_f64_e32 v[10:11], s[0:1], v[46:47]
	v_fmac_f64_e32 v[42:43], s[14:15], v[44:45]
	;; [unrolled: 1-line block ×3, first 2 shown]
	v_add_f64 v[44:45], v[4:5], v[88:89]
	v_add_f64 v[44:45], v[44:45], v[16:17]
	;; [unrolled: 1-line block ×5, first 2 shown]
	v_fma_f64 v[44:45], -0.5, v[44:45], v[4:5]
	v_add_f64 v[46:47], v[90:91], -v[22:23]
	v_fma_f64 v[52:53], s[2:3], v[46:47], v[44:45]
	v_add_f64 v[50:51], v[18:19], -v[26:27]
	v_add_f64 v[54:55], v[88:89], -v[16:17]
	;; [unrolled: 1-line block ×3, first 2 shown]
	v_fmac_f64_e32 v[44:45], s[16:17], v[46:47]
	v_fmac_f64_e32 v[52:53], s[0:1], v[50:51]
	v_add_f64 v[54:55], v[54:55], v[56:57]
	v_fmac_f64_e32 v[44:45], s[18:19], v[50:51]
	v_fmac_f64_e32 v[52:53], s[14:15], v[54:55]
	;; [unrolled: 1-line block ×3, first 2 shown]
	v_add_f64 v[54:55], v[88:89], v[20:21]
	v_fmac_f64_e32 v[4:5], -0.5, v[54:55]
	v_fma_f64 v[56:57], s[16:17], v[50:51], v[4:5]
	v_fmac_f64_e32 v[4:5], s[2:3], v[50:51]
	v_fmac_f64_e32 v[56:57], s[0:1], v[46:47]
	;; [unrolled: 1-line block ×3, first 2 shown]
	v_add_f64 v[46:47], v[6:7], v[90:91]
	v_add_f64 v[46:47], v[46:47], v[18:19]
	;; [unrolled: 1-line block ×3, first 2 shown]
	v_add_f64 v[54:55], v[16:17], -v[88:89]
	v_add_f64 v[58:59], v[24:25], -v[20:21]
	v_add_f64 v[50:51], v[46:47], v[22:23]
	v_add_f64 v[46:47], v[18:19], v[26:27]
	;; [unrolled: 1-line block ×3, first 2 shown]
	v_fma_f64 v[46:47], -0.5, v[46:47], v[6:7]
	v_add_f64 v[20:21], v[88:89], -v[20:21]
	v_fmac_f64_e32 v[56:57], s[14:15], v[54:55]
	v_fmac_f64_e32 v[4:5], s[14:15], v[54:55]
	v_fma_f64 v[54:55], s[16:17], v[20:21], v[46:47]
	v_add_f64 v[16:17], v[16:17], -v[24:25]
	v_add_f64 v[24:25], v[90:91], -v[18:19]
	;; [unrolled: 1-line block ×3, first 2 shown]
	v_fmac_f64_e32 v[46:47], s[2:3], v[20:21]
	v_fmac_f64_e32 v[54:55], s[18:19], v[16:17]
	v_add_f64 v[24:25], v[24:25], v[58:59]
	v_fmac_f64_e32 v[46:47], s[0:1], v[16:17]
	v_fmac_f64_e32 v[54:55], s[14:15], v[24:25]
	;; [unrolled: 1-line block ×3, first 2 shown]
	v_add_f64 v[24:25], v[90:91], v[22:23]
	v_fmac_f64_e32 v[6:7], -0.5, v[24:25]
	v_fma_f64 v[58:59], s[2:3], v[16:17], v[6:7]
	v_add_f64 v[18:19], v[18:19], -v[90:91]
	v_add_f64 v[22:23], v[26:27], -v[22:23]
	v_fmac_f64_e32 v[6:7], s[16:17], v[16:17]
	v_fmac_f64_e32 v[58:59], s[18:19], v[20:21]
	v_add_f64 v[18:19], v[18:19], v[22:23]
	v_fmac_f64_e32 v[6:7], s[0:1], v[20:21]
	v_fmac_f64_e32 v[58:59], s[14:15], v[18:19]
	;; [unrolled: 1-line block ×3, first 2 shown]
	v_add_f64 v[18:19], v[76:77], v[80:81]
	v_fma_f64 v[20:21], -0.5, v[18:19], v[0:1]
	v_add_f64 v[18:19], v[74:75], -v[86:87]
	v_fma_f64 v[24:25], s[2:3], v[18:19], v[20:21]
	v_add_f64 v[22:23], v[78:79], -v[82:83]
	v_add_f64 v[26:27], v[72:73], -v[76:77]
	;; [unrolled: 1-line block ×3, first 2 shown]
	v_fmac_f64_e32 v[20:21], s[16:17], v[18:19]
	v_fmac_f64_e32 v[24:25], s[0:1], v[22:23]
	v_add_f64 v[26:27], v[26:27], v[88:89]
	v_fmac_f64_e32 v[20:21], s[18:19], v[22:23]
	v_fmac_f64_e32 v[24:25], s[14:15], v[26:27]
	;; [unrolled: 1-line block ×3, first 2 shown]
	v_add_f64 v[26:27], v[72:73], v[84:85]
	v_add_f64 v[16:17], v[0:1], v[72:73]
	v_fmac_f64_e32 v[0:1], -0.5, v[26:27]
	v_add_f64 v[16:17], v[16:17], v[76:77]
	v_fma_f64 v[88:89], s[16:17], v[22:23], v[0:1]
	v_add_f64 v[26:27], v[76:77], -v[72:73]
	v_add_f64 v[90:91], v[80:81], -v[84:85]
	v_fmac_f64_e32 v[0:1], s[2:3], v[22:23]
	v_add_f64 v[22:23], v[78:79], v[82:83]
	v_add_f64 v[16:17], v[16:17], v[80:81]
	v_fmac_f64_e32 v[88:89], s[0:1], v[18:19]
	v_add_f64 v[26:27], v[26:27], v[90:91]
	v_fmac_f64_e32 v[0:1], s[18:19], v[18:19]
	v_fma_f64 v[22:23], -0.5, v[22:23], v[2:3]
	v_add_f64 v[72:73], v[72:73], -v[84:85]
	v_add_f64 v[16:17], v[16:17], v[84:85]
	v_fmac_f64_e32 v[88:89], s[14:15], v[26:27]
	v_fmac_f64_e32 v[0:1], s[14:15], v[26:27]
	v_fma_f64 v[26:27], s[16:17], v[72:73], v[22:23]
	v_add_f64 v[76:77], v[76:77], -v[80:81]
	v_add_f64 v[80:81], v[74:75], -v[78:79]
	;; [unrolled: 1-line block ×3, first 2 shown]
	v_fmac_f64_e32 v[22:23], s[2:3], v[72:73]
	v_fmac_f64_e32 v[26:27], s[18:19], v[76:77]
	v_add_f64 v[80:81], v[80:81], v[84:85]
	v_fmac_f64_e32 v[22:23], s[0:1], v[76:77]
	v_fmac_f64_e32 v[26:27], s[14:15], v[80:81]
	;; [unrolled: 1-line block ×3, first 2 shown]
	v_add_f64 v[80:81], v[74:75], v[86:87]
	v_add_f64 v[18:19], v[2:3], v[74:75]
	v_fmac_f64_e32 v[2:3], -0.5, v[80:81]
	v_fma_f64 v[90:91], s[2:3], v[76:77], v[2:3]
	v_fmac_f64_e32 v[2:3], s[16:17], v[76:77]
	v_fmac_f64_e32 v[90:91], s[18:19], v[72:73]
	;; [unrolled: 1-line block ×3, first 2 shown]
	v_add_f64 v[72:73], v[124:125], v[12:13]
	v_add_f64 v[72:73], v[72:73], v[60:61]
	;; [unrolled: 1-line block ×4, first 2 shown]
	v_add_f64 v[74:75], v[78:79], -v[74:75]
	v_add_f64 v[78:79], v[82:83], -v[86:87]
	v_add_f64 v[128:129], v[72:73], v[68:69]
	v_add_f64 v[72:73], v[60:61], v[64:65]
	v_add_f64 v[74:75], v[74:75], v[78:79]
	v_fma_f64 v[148:149], -0.5, v[72:73], v[124:125]
	v_add_f64 v[72:73], v[14:15], -v[70:71]
	v_fmac_f64_e32 v[90:91], s[14:15], v[74:75]
	v_fmac_f64_e32 v[2:3], s[14:15], v[74:75]
	v_fma_f64 v[144:145], s[2:3], v[72:73], v[148:149]
	v_add_f64 v[74:75], v[62:63], -v[66:67]
	v_add_f64 v[76:77], v[12:13], -v[60:61]
	;; [unrolled: 1-line block ×3, first 2 shown]
	v_fmac_f64_e32 v[148:149], s[16:17], v[72:73]
	v_fmac_f64_e32 v[144:145], s[0:1], v[74:75]
	v_add_f64 v[76:77], v[76:77], v[78:79]
	v_fmac_f64_e32 v[148:149], s[18:19], v[74:75]
	v_fmac_f64_e32 v[144:145], s[14:15], v[76:77]
	;; [unrolled: 1-line block ×3, first 2 shown]
	v_add_f64 v[76:77], v[12:13], v[68:69]
	v_fmac_f64_e32 v[124:125], -0.5, v[76:77]
	v_fma_f64 v[152:153], s[16:17], v[74:75], v[124:125]
	v_fmac_f64_e32 v[124:125], s[2:3], v[74:75]
	v_fmac_f64_e32 v[152:153], s[0:1], v[72:73]
	;; [unrolled: 1-line block ×3, first 2 shown]
	v_add_f64 v[72:73], v[126:127], v[14:15]
	v_add_f64 v[72:73], v[72:73], v[62:63]
	;; [unrolled: 1-line block ×5, first 2 shown]
	v_add_f64 v[76:77], v[60:61], -v[12:13]
	v_fma_f64 v[150:151], -0.5, v[72:73], v[126:127]
	v_add_f64 v[12:13], v[12:13], -v[68:69]
	v_add_f64 v[78:79], v[64:65], -v[68:69]
	v_fma_f64 v[146:147], s[16:17], v[12:13], v[150:151]
	v_add_f64 v[60:61], v[60:61], -v[64:65]
	v_add_f64 v[64:65], v[14:15], -v[62:63]
	;; [unrolled: 1-line block ×3, first 2 shown]
	v_fmac_f64_e32 v[150:151], s[2:3], v[12:13]
	v_fmac_f64_e32 v[146:147], s[18:19], v[60:61]
	v_add_f64 v[64:65], v[64:65], v[68:69]
	v_fmac_f64_e32 v[150:151], s[0:1], v[60:61]
	v_fmac_f64_e32 v[146:147], s[14:15], v[64:65]
	;; [unrolled: 1-line block ×3, first 2 shown]
	v_add_f64 v[64:65], v[14:15], v[70:71]
	v_fmac_f64_e32 v[126:127], -0.5, v[64:65]
	v_fma_f64 v[154:155], s[2:3], v[60:61], v[126:127]
	v_fmac_f64_e32 v[126:127], s[16:17], v[60:61]
	v_fmac_f64_e32 v[154:155], s[18:19], v[12:13]
	;; [unrolled: 1-line block ×3, first 2 shown]
	v_mul_lo_u16_e32 v12, 5, v94
	v_add_f64 v[14:15], v[62:63], -v[14:15]
	v_add_f64 v[62:63], v[66:67], -v[70:71]
	v_lshl_add_u32 v66, v12, 4, v212
	s_barrier
	ds_write_b128 v66, v[32:35]
	ds_write_b128 v66, v[36:39] offset:16
	ds_write_b128 v66, v[40:43] offset:32
	;; [unrolled: 1-line block ×4, first 2 shown]
	v_mul_u32_u24_e32 v8, 5, v196
	v_lshl_add_u32 v67, v8, 4, v212
	v_add_f64 v[18:19], v[18:19], v[82:83]
	ds_write_b128 v67, v[48:51]
	ds_write_b128 v67, v[52:55] offset:16
	ds_write_b128 v67, v[56:59] offset:32
	;; [unrolled: 1-line block ×4, first 2 shown]
	v_mul_u32_u24_e32 v4, 5, v194
	v_add_f64 v[18:19], v[18:19], v[86:87]
	v_lshl_add_u32 v4, v4, 4, v212
	v_add_f64 v[76:77], v[76:77], v[78:79]
	v_add_f64 v[14:15], v[14:15], v[62:63]
	ds_write_b128 v4, v[16:19]
	ds_write_b128 v4, v[24:27] offset:16
	ds_write_b128 v4, v[88:91] offset:32
	;; [unrolled: 1-line block ×3, first 2 shown]
	v_mul_u32_u24_e32 v0, 5, v192
	v_fmac_f64_e32 v[152:153], s[14:15], v[76:77]
	v_fmac_f64_e32 v[124:125], s[14:15], v[76:77]
	;; [unrolled: 1-line block ×4, first 2 shown]
	v_accvgpr_write_b32 a66, v4
	v_accvgpr_write_b32 a67, v0
	ds_write_b128 v4, v[20:23] offset:64
	s_and_saveexec_b64 s[0:1], vcc
	s_cbranch_execz .LBB0_7
; %bb.6:
	v_accvgpr_read_b32 v0, a67
	v_lshl_add_u32 v0, v0, 4, v212
	ds_write_b128 v0, v[128:131]
	ds_write_b128 v0, v[144:147] offset:16
	ds_write_b128 v0, v[152:155] offset:32
	;; [unrolled: 1-line block ×4, first 2 shown]
.LBB0_7:
	s_or_b64 exec, exec, s[0:1]
	s_waitcnt lgkmcnt(0)
	s_barrier
	ds_read_b128 v[140:143], v92
	ds_read_b128 v[136:139], v92 offset:1200
	ds_read_b128 v[36:39], v92 offset:7680
	;; [unrolled: 1-line block ×14, first 2 shown]
	s_and_saveexec_b64 s[0:1], vcc
	s_cbranch_execz .LBB0_9
; %bb.8:
	ds_read_b128 v[128:131], v92 offset:3600
	ds_read_b128 v[144:147], v92 offset:7440
	;; [unrolled: 1-line block ×5, first 2 shown]
.LBB0_9:
	s_or_b64 exec, exec, s[0:1]
	s_movk_i32 s0, 0xcd
	v_mul_lo_u16_sdwa v48, v94, s0 dst_sel:DWORD dst_unused:UNUSED_PAD src0_sel:BYTE_0 src1_sel:DWORD
	v_lshrrev_b16_e32 v93, 10, v48
	v_mul_lo_u16_e32 v48, 5, v93
	v_accvgpr_write_b32 a10, v94
	v_accvgpr_write_b32 a11, v95
	v_sub_u16_e32 v94, v94, v48
	v_mov_b32_e32 v58, 6
	v_lshlrev_b32_sdwa v48, v58, v94 dst_sel:DWORD dst_unused:UNUSED_PAD src0_sel:DWORD src1_sel:BYTE_0
	global_load_dwordx4 v[60:63], v48, s[10:11] offset:48
	global_load_dwordx4 v[52:55], v48, s[10:11] offset:32
	;; [unrolled: 1-line block ×3, first 2 shown]
	global_load_dwordx4 v[72:75], v48, s[10:11]
	s_mov_b32 s16, s2
	s_waitcnt vmcnt(3)
	v_accvgpr_write_b32 a71, v63
	s_waitcnt vmcnt(2)
	v_accvgpr_write_b32 a75, v55
	v_accvgpr_write_b32 a74, v54
	s_waitcnt vmcnt(0) lgkmcnt(8)
	v_mul_f64 v[48:49], v[46:47], v[74:75]
	v_fma_f64 v[48:49], v[44:45], v[72:73], -v[48:49]
	v_mul_f64 v[44:45], v[44:45], v[74:75]
	v_fmac_f64_e32 v[44:45], v[46:47], v[72:73]
	v_mul_f64 v[46:47], v[38:39], v[70:71]
	v_fma_f64 v[46:47], v[36:37], v[68:69], -v[46:47]
	v_mul_f64 v[36:37], v[36:37], v[70:71]
	v_fmac_f64_e32 v[36:37], v[38:39], v[68:69]
	s_waitcnt lgkmcnt(4)
	v_mul_f64 v[38:39], v[42:43], v[54:55]
	v_fma_f64 v[50:51], v[40:41], v[52:53], -v[38:39]
	v_mul_f64 v[38:39], v[40:41], v[54:55]
	v_mul_f64 v[40:41], v[34:35], v[62:63]
	v_accvgpr_write_b32 a73, v53
	v_accvgpr_write_b32 a72, v52
	v_fma_f64 v[54:55], v[32:33], v[60:61], -v[40:41]
	v_mul_f64 v[32:33], v[32:33], v[62:63]
	v_fmac_f64_e32 v[32:33], v[34:35], v[60:61]
	v_mul_lo_u16_sdwa v34, v196, s0 dst_sel:DWORD dst_unused:UNUSED_PAD src0_sel:BYTE_0 src1_sel:DWORD
	v_lshrrev_b16_e32 v95, 10, v34
	v_mul_lo_u16_e32 v34, 5, v95
	v_sub_u16_e32 v172, v196, v34
	v_accvgpr_write_b32 a79, v71
	v_lshlrev_b32_sdwa v34, v58, v172 dst_sel:DWORD dst_unused:UNUSED_PAD src0_sel:DWORD src1_sel:BYTE_0
	v_accvgpr_write_b32 a78, v70
	v_accvgpr_write_b32 a77, v69
	;; [unrolled: 1-line block ×3, first 2 shown]
	global_load_dwordx4 v[68:71], v34, s[10:11] offset:48
	global_load_dwordx4 v[80:83], v34, s[10:11] offset:32
	;; [unrolled: 1-line block ×3, first 2 shown]
	global_load_dwordx4 v[88:91], v34, s[10:11]
	v_fmac_f64_e32 v[38:39], v[42:43], v[52:53]
	v_accvgpr_write_b32 a70, v62
	v_accvgpr_write_b32 a69, v61
	;; [unrolled: 1-line block ×7, first 2 shown]
	s_waitcnt vmcnt(3)
	v_mul_f64 v[52:53], v[16:17], v[70:71]
	s_waitcnt vmcnt(2) lgkmcnt(2)
	v_mul_f64 v[42:43], v[24:25], v[82:83]
	s_waitcnt vmcnt(1)
	v_mul_f64 v[40:41], v[20:21], v[86:87]
	s_waitcnt vmcnt(0)
	v_mul_f64 v[34:35], v[30:31], v[90:91]
	v_fma_f64 v[56:57], v[28:29], v[88:89], -v[34:35]
	v_mul_f64 v[34:35], v[28:29], v[90:91]
	v_mul_f64 v[28:29], v[22:23], v[86:87]
	v_fmac_f64_e32 v[34:35], v[30:31], v[88:89]
	v_fma_f64 v[30:31], v[20:21], v[84:85], -v[28:29]
	v_mul_f64 v[20:21], v[26:27], v[82:83]
	v_fma_f64 v[62:63], v[24:25], v[80:81], -v[20:21]
	v_mul_f64 v[20:21], v[18:19], v[70:71]
	v_fmac_f64_e32 v[42:43], v[26:27], v[80:81]
	v_fma_f64 v[26:27], v[16:17], v[68:69], -v[20:21]
	v_mul_lo_u16_sdwa v16, v194, s0 dst_sel:DWORD dst_unused:UNUSED_PAD src0_sel:BYTE_0 src1_sel:DWORD
	v_lshrrev_b16_e32 v173, 10, v16
	v_mul_lo_u16_e32 v16, 5, v173
	v_sub_u16_e32 v174, v194, v16
	v_lshlrev_b32_sdwa v16, v58, v174 dst_sel:DWORD dst_unused:UNUSED_PAD src0_sel:DWORD src1_sel:BYTE_0
	global_load_dwordx4 v[74:77], v16, s[10:11] offset:48
	global_load_dwordx4 v[96:99], v16, s[10:11] offset:32
	;; [unrolled: 1-line block ×3, first 2 shown]
	global_load_dwordx4 v[104:107], v16, s[10:11]
	s_mov_b32 s0, 0xcccd
	v_fmac_f64_e32 v[52:53], v[18:19], v[68:69]
	v_add_f64 v[18:19], v[46:47], -v[50:51]
	v_add_f64 v[20:21], v[32:33], -v[38:39]
	v_fmac_f64_e32 v[40:41], v[22:23], v[84:85]
	v_add_f64 v[22:23], v[38:39], -v[32:33]
	v_add_f64 v[28:29], v[56:57], -v[30:31]
	s_waitcnt vmcnt(3) lgkmcnt(0)
	v_mul_f64 v[158:159], v[0:1], v[76:77]
	s_waitcnt vmcnt(2)
	v_mul_f64 v[156:157], v[4:5], v[98:99]
	s_waitcnt vmcnt(1)
	;; [unrolled: 2-line block ×3, first 2 shown]
	v_mul_f64 v[16:17], v[14:15], v[106:107]
	v_fma_f64 v[160:161], v[12:13], v[104:105], -v[16:17]
	v_mul_f64 v[58:59], v[12:13], v[106:107]
	v_mul_f64 v[12:13], v[10:11], v[102:103]
	v_fma_f64 v[162:163], v[8:9], v[100:101], -v[12:13]
	v_mul_f64 v[8:9], v[6:7], v[98:99]
	v_fma_f64 v[164:165], v[4:5], v[96:97], -v[8:9]
	v_mul_f64 v[4:5], v[2:3], v[76:77]
	v_fma_f64 v[166:167], v[0:1], v[74:75], -v[4:5]
	v_mul_u32_u24_sdwa v0, v192, s0 dst_sel:DWORD dst_unused:UNUSED_PAD src0_sel:WORD_0 src1_sel:DWORD
	v_lshrrev_b32_e32 v175, 18, v0
	v_mul_lo_u16_e32 v0, 5, v175
	v_sub_u16_e32 v176, v192, v0
	v_lshlrev_b16_e32 v0, 2, v176
	v_lshlrev_b32_e32 v0, 4, v0
	global_load_dwordx4 v[108:111], v0, s[10:11] offset:48
	global_load_dwordx4 v[112:115], v0, s[10:11] offset:32
	;; [unrolled: 1-line block ×3, first 2 shown]
	global_load_dwordx4 v[120:123], v0, s[10:11]
	v_fmac_f64_e32 v[158:159], v[2:3], v[74:75]
	v_add_f64 v[2:3], v[44:45], -v[32:33]
	s_mov_b32 s0, 0x4755a5e
	v_fmac_f64_e32 v[60:61], v[10:11], v[100:101]
	v_fmac_f64_e32 v[156:157], v[6:7], v[96:97]
	v_add_f64 v[6:7], v[36:37], -v[38:39]
	s_mov_b32 s1, 0x3fe2cf23
	v_add_f64 v[10:11], v[48:49], -v[46:47]
	v_add_f64 v[12:13], v[54:55], -v[50:51]
	s_mov_b32 s18, s0
	v_add_f64 v[10:11], v[10:11], v[12:13]
	v_fmac_f64_e32 v[58:59], v[14:15], v[104:105]
	v_add_f64 v[14:15], v[50:51], -v[54:55]
	v_add_f64 v[16:17], v[48:49], -v[54:55]
	s_barrier
	s_waitcnt vmcnt(0)
	v_mul_f64 v[0:1], v[146:147], v[122:123]
	v_fma_f64 v[168:169], v[144:145], v[120:121], -v[0:1]
	v_mul_f64 v[0:1], v[154:155], v[118:119]
	v_mul_f64 v[170:171], v[144:145], v[122:123]
	v_fma_f64 v[144:145], v[152:153], v[116:117], -v[0:1]
	v_mul_f64 v[0:1], v[126:127], v[114:115]
	v_fmac_f64_e32 v[170:171], v[146:147], v[120:121]
	v_mul_f64 v[152:153], v[152:153], v[118:119]
	v_fma_f64 v[146:147], v[124:125], v[112:113], -v[0:1]
	v_mul_f64 v[0:1], v[150:151], v[110:111]
	v_fmac_f64_e32 v[152:153], v[154:155], v[116:117]
	v_mul_f64 v[154:155], v[124:125], v[114:115]
	v_fma_f64 v[124:125], v[148:149], v[108:109], -v[0:1]
	v_add_f64 v[0:1], v[140:141], v[48:49]
	v_add_f64 v[0:1], v[0:1], v[46:47]
	;; [unrolled: 1-line block ×5, first 2 shown]
	v_fma_f64 v[0:1], -0.5, v[0:1], v[140:141]
	v_fma_f64 v[8:9], s[2:3], v[2:3], v[0:1]
	v_fmac_f64_e32 v[0:1], s[16:17], v[2:3]
	v_fmac_f64_e32 v[8:9], s[0:1], v[6:7]
	;; [unrolled: 1-line block ×5, first 2 shown]
	v_add_f64 v[10:11], v[48:49], v[54:55]
	v_fmac_f64_e32 v[140:141], -0.5, v[10:11]
	v_fma_f64 v[12:13], s[16:17], v[6:7], v[140:141]
	v_fmac_f64_e32 v[140:141], s[2:3], v[6:7]
	v_fmac_f64_e32 v[12:13], s[0:1], v[2:3]
	;; [unrolled: 1-line block ×3, first 2 shown]
	v_add_f64 v[2:3], v[142:143], v[44:45]
	v_add_f64 v[2:3], v[2:3], v[36:37]
	;; [unrolled: 1-line block ×3, first 2 shown]
	v_add_f64 v[10:11], v[46:47], -v[48:49]
	v_add_f64 v[6:7], v[2:3], v[32:33]
	v_add_f64 v[2:3], v[36:37], v[38:39]
	;; [unrolled: 1-line block ×3, first 2 shown]
	v_fma_f64 v[2:3], -0.5, v[2:3], v[142:143]
	v_fmac_f64_e32 v[12:13], s[14:15], v[10:11]
	v_fmac_f64_e32 v[140:141], s[14:15], v[10:11]
	v_fma_f64 v[10:11], s[16:17], v[16:17], v[2:3]
	v_add_f64 v[14:15], v[44:45], -v[36:37]
	v_fmac_f64_e32 v[2:3], s[2:3], v[16:17]
	v_fmac_f64_e32 v[10:11], s[18:19], v[18:19]
	v_add_f64 v[14:15], v[14:15], v[20:21]
	v_fmac_f64_e32 v[2:3], s[0:1], v[18:19]
	v_fmac_f64_e32 v[10:11], s[14:15], v[14:15]
	;; [unrolled: 1-line block ×3, first 2 shown]
	v_add_f64 v[14:15], v[44:45], v[32:33]
	v_fmac_f64_e32 v[142:143], -0.5, v[14:15]
	v_fma_f64 v[14:15], s[2:3], v[18:19], v[142:143]
	v_fmac_f64_e32 v[142:143], s[16:17], v[18:19]
	v_fmac_f64_e32 v[14:15], s[18:19], v[16:17]
	v_fmac_f64_e32 v[142:143], s[0:1], v[16:17]
	v_add_f64 v[16:17], v[136:137], v[56:57]
	v_add_f64 v[20:21], v[36:37], -v[44:45]
	v_add_f64 v[16:17], v[16:17], v[30:31]
	v_add_f64 v[20:21], v[20:21], v[22:23]
	;; [unrolled: 1-line block ×3, first 2 shown]
	v_fmac_f64_e32 v[14:15], s[14:15], v[20:21]
	v_fmac_f64_e32 v[142:143], s[14:15], v[20:21]
	v_add_f64 v[20:21], v[16:17], v[26:27]
	v_add_f64 v[16:17], v[30:31], v[62:63]
	v_fma_f64 v[16:17], -0.5, v[16:17], v[136:137]
	v_add_f64 v[18:19], v[34:35], -v[52:53]
	v_fma_f64 v[24:25], s[2:3], v[18:19], v[16:17]
	v_add_f64 v[22:23], v[40:41], -v[42:43]
	v_add_f64 v[32:33], v[26:27], -v[62:63]
	v_fmac_f64_e32 v[16:17], s[16:17], v[18:19]
	v_fmac_f64_e32 v[24:25], s[0:1], v[22:23]
	v_add_f64 v[28:29], v[28:29], v[32:33]
	v_fmac_f64_e32 v[16:17], s[18:19], v[22:23]
	v_fmac_f64_e32 v[24:25], s[14:15], v[28:29]
	;; [unrolled: 1-line block ×3, first 2 shown]
	v_add_f64 v[28:29], v[56:57], v[26:27]
	v_fmac_f64_e32 v[136:137], -0.5, v[28:29]
	v_fma_f64 v[28:29], s[16:17], v[22:23], v[136:137]
	v_fmac_f64_e32 v[136:137], s[2:3], v[22:23]
	v_fmac_f64_e32 v[28:29], s[0:1], v[18:19]
	;; [unrolled: 1-line block ×3, first 2 shown]
	v_add_f64 v[18:19], v[138:139], v[34:35]
	v_add_f64 v[18:19], v[18:19], v[40:41]
	v_add_f64 v[32:33], v[30:31], -v[56:57]
	v_add_f64 v[36:37], v[62:63], -v[26:27]
	v_add_f64 v[18:19], v[18:19], v[42:43]
	v_add_f64 v[32:33], v[32:33], v[36:37]
	;; [unrolled: 1-line block ×4, first 2 shown]
	v_fmac_f64_e32 v[28:29], s[14:15], v[32:33]
	v_fmac_f64_e32 v[136:137], s[14:15], v[32:33]
	v_fma_f64 v[18:19], -0.5, v[18:19], v[138:139]
	v_add_f64 v[32:33], v[56:57], -v[26:27]
	v_fma_f64 v[26:27], s[16:17], v[32:33], v[18:19]
	v_add_f64 v[36:37], v[30:31], -v[62:63]
	v_add_f64 v[30:31], v[34:35], -v[40:41]
	;; [unrolled: 1-line block ×3, first 2 shown]
	v_fmac_f64_e32 v[18:19], s[2:3], v[32:33]
	v_fmac_f64_e32 v[26:27], s[18:19], v[36:37]
	v_add_f64 v[30:31], v[30:31], v[38:39]
	v_fmac_f64_e32 v[18:19], s[0:1], v[36:37]
	v_fmac_f64_e32 v[26:27], s[14:15], v[30:31]
	;; [unrolled: 1-line block ×3, first 2 shown]
	v_add_f64 v[30:31], v[34:35], v[52:53]
	v_fmac_f64_e32 v[138:139], -0.5, v[30:31]
	v_fma_f64 v[30:31], s[2:3], v[36:37], v[138:139]
	v_add_f64 v[34:35], v[40:41], -v[34:35]
	v_add_f64 v[38:39], v[42:43], -v[52:53]
	v_fmac_f64_e32 v[138:139], s[16:17], v[36:37]
	v_fmac_f64_e32 v[30:31], s[18:19], v[32:33]
	v_add_f64 v[34:35], v[34:35], v[38:39]
	v_fmac_f64_e32 v[138:139], s[0:1], v[32:33]
	v_fmac_f64_e32 v[30:31], s[14:15], v[34:35]
	;; [unrolled: 1-line block ×3, first 2 shown]
	v_add_f64 v[34:35], v[162:163], v[164:165]
	v_fma_f64 v[36:37], -0.5, v[34:35], v[132:133]
	v_add_f64 v[34:35], v[58:59], -v[158:159]
	v_fma_f64 v[40:41], s[2:3], v[34:35], v[36:37]
	v_add_f64 v[38:39], v[60:61], -v[156:157]
	v_add_f64 v[42:43], v[160:161], -v[162:163]
	;; [unrolled: 1-line block ×3, first 2 shown]
	v_fmac_f64_e32 v[36:37], s[16:17], v[34:35]
	v_fmac_f64_e32 v[40:41], s[0:1], v[38:39]
	v_add_f64 v[42:43], v[42:43], v[44:45]
	v_fmac_f64_e32 v[36:37], s[18:19], v[38:39]
	v_fmac_f64_e32 v[40:41], s[14:15], v[42:43]
	;; [unrolled: 1-line block ×3, first 2 shown]
	v_add_f64 v[42:43], v[160:161], v[166:167]
	v_add_f64 v[32:33], v[132:133], v[160:161]
	v_fmac_f64_e32 v[132:133], -0.5, v[42:43]
	v_fma_f64 v[44:45], s[16:17], v[38:39], v[132:133]
	v_add_f64 v[42:43], v[162:163], -v[160:161]
	v_add_f64 v[46:47], v[164:165], -v[166:167]
	v_fmac_f64_e32 v[132:133], s[2:3], v[38:39]
	v_add_f64 v[38:39], v[60:61], v[156:157]
	v_fmac_f64_e32 v[44:45], s[0:1], v[34:35]
	v_add_f64 v[42:43], v[42:43], v[46:47]
	v_fmac_f64_e32 v[132:133], s[18:19], v[34:35]
	v_fma_f64 v[38:39], -0.5, v[38:39], v[134:135]
	v_add_f64 v[48:49], v[160:161], -v[166:167]
	v_fmac_f64_e32 v[44:45], s[14:15], v[42:43]
	v_fmac_f64_e32 v[132:133], s[14:15], v[42:43]
	v_fma_f64 v[42:43], s[16:17], v[48:49], v[38:39]
	v_add_f64 v[50:51], v[162:163], -v[164:165]
	v_add_f64 v[46:47], v[58:59], -v[60:61]
	;; [unrolled: 1-line block ×3, first 2 shown]
	v_fmac_f64_e32 v[38:39], s[2:3], v[48:49]
	v_fmac_f64_e32 v[42:43], s[18:19], v[50:51]
	v_add_f64 v[46:47], v[46:47], v[52:53]
	v_fmac_f64_e32 v[38:39], s[0:1], v[50:51]
	v_fmac_f64_e32 v[42:43], s[14:15], v[46:47]
	;; [unrolled: 1-line block ×3, first 2 shown]
	v_add_f64 v[46:47], v[58:59], v[158:159]
	v_add_f64 v[34:35], v[134:135], v[58:59]
	v_fmac_f64_e32 v[134:135], -0.5, v[46:47]
	v_fmac_f64_e32 v[154:155], v[126:127], v[112:113]
	v_mul_f64 v[126:127], v[148:149], v[110:111]
	v_fma_f64 v[46:47], s[2:3], v[50:51], v[134:135]
	v_fmac_f64_e32 v[134:135], s[16:17], v[50:51]
	v_fmac_f64_e32 v[126:127], v[150:151], v[108:109]
	v_fmac_f64_e32 v[46:47], s[18:19], v[48:49]
	v_add_f64 v[52:53], v[60:61], -v[58:59]
	v_add_f64 v[54:55], v[156:157], -v[158:159]
	v_fmac_f64_e32 v[134:135], s[0:1], v[48:49]
	v_add_f64 v[48:49], v[144:145], v[146:147]
	v_add_f64 v[52:53], v[52:53], v[54:55]
	v_fma_f64 v[224:225], -0.5, v[48:49], v[128:129]
	v_add_f64 v[48:49], v[170:171], -v[126:127]
	v_fmac_f64_e32 v[46:47], s[14:15], v[52:53]
	v_fmac_f64_e32 v[134:135], s[14:15], v[52:53]
	v_fma_f64 v[244:245], s[2:3], v[48:49], v[224:225]
	v_add_f64 v[50:51], v[152:153], -v[154:155]
	v_add_f64 v[52:53], v[168:169], -v[144:145]
	v_add_f64 v[54:55], v[124:125], -v[146:147]
	v_fmac_f64_e32 v[224:225], s[16:17], v[48:49]
	v_fmac_f64_e32 v[244:245], s[0:1], v[50:51]
	v_add_f64 v[52:53], v[52:53], v[54:55]
	v_fmac_f64_e32 v[224:225], s[18:19], v[50:51]
	v_fmac_f64_e32 v[244:245], s[14:15], v[52:53]
	;; [unrolled: 1-line block ×3, first 2 shown]
	v_add_f64 v[52:53], v[168:169], v[124:125]
	v_fma_f64 v[228:229], -0.5, v[52:53], v[128:129]
	v_fma_f64 v[248:249], s[16:17], v[50:51], v[228:229]
	v_fmac_f64_e32 v[228:229], s[2:3], v[50:51]
	v_fmac_f64_e32 v[248:249], s[0:1], v[48:49]
	v_add_f64 v[52:53], v[144:145], -v[168:169]
	v_add_f64 v[54:55], v[146:147], -v[124:125]
	v_fmac_f64_e32 v[228:229], s[18:19], v[48:49]
	v_add_f64 v[48:49], v[152:153], v[154:155]
	v_add_f64 v[52:53], v[52:53], v[54:55]
	v_fma_f64 v[226:227], -0.5, v[48:49], v[130:131]
	v_add_f64 v[48:49], v[168:169], -v[124:125]
	v_fmac_f64_e32 v[248:249], s[14:15], v[52:53]
	v_fmac_f64_e32 v[228:229], s[14:15], v[52:53]
	v_fma_f64 v[246:247], s[16:17], v[48:49], v[226:227]
	v_add_f64 v[50:51], v[144:145], -v[146:147]
	v_add_f64 v[52:53], v[170:171], -v[152:153]
	;; [unrolled: 1-line block ×3, first 2 shown]
	v_fmac_f64_e32 v[226:227], s[2:3], v[48:49]
	v_fmac_f64_e32 v[246:247], s[18:19], v[50:51]
	v_add_f64 v[52:53], v[52:53], v[54:55]
	v_fmac_f64_e32 v[226:227], s[0:1], v[50:51]
	v_fmac_f64_e32 v[246:247], s[14:15], v[52:53]
	;; [unrolled: 1-line block ×3, first 2 shown]
	v_add_f64 v[52:53], v[170:171], v[126:127]
	v_fma_f64 v[230:231], -0.5, v[52:53], v[130:131]
	v_fma_f64 v[250:251], s[2:3], v[50:51], v[230:231]
	v_fmac_f64_e32 v[230:231], s[16:17], v[50:51]
	v_fmac_f64_e32 v[250:251], s[18:19], v[48:49]
	;; [unrolled: 1-line block ×3, first 2 shown]
	v_mul_u32_u24_e32 v48, 25, v93
	v_add_u32_sdwa v48, v48, v94 dst_sel:DWORD dst_unused:UNUSED_PAD src0_sel:DWORD src1_sel:BYTE_0
	v_lshl_add_u32 v48, v48, 4, v212
	ds_write_b128 v48, v[4:7]
	ds_write_b128 v48, v[8:11] offset:80
	ds_write_b128 v48, v[12:15] offset:160
	;; [unrolled: 1-line block ×4, first 2 shown]
	v_mul_u32_u24_e32 v0, 25, v95
	v_add_u32_sdwa v0, v0, v172 dst_sel:DWORD dst_unused:UNUSED_PAD src0_sel:DWORD src1_sel:BYTE_0
	v_lshl_add_u32 v0, v0, 4, v212
	ds_write_b128 v0, v[20:23]
	ds_write_b128 v0, v[24:27] offset:80
	ds_write_b128 v0, v[28:31] offset:160
	;; [unrolled: 1-line block ×3, first 2 shown]
	v_accvgpr_write_b32 a86, v0
	ds_write_b128 v0, v[16:19] offset:320
	v_mul_u32_u24_e32 v0, 25, v173
	v_add_f64 v[32:33], v[32:33], v[162:163]
	v_add_f64 v[34:35], v[34:35], v[60:61]
	v_add_f64 v[52:53], v[152:153], -v[170:171]
	v_add_f64 v[54:55], v[154:155], -v[126:127]
	v_add_u32_sdwa v0, v0, v174 dst_sel:DWORD dst_unused:UNUSED_PAD src0_sel:DWORD src1_sel:BYTE_0
	v_add_f64 v[32:33], v[32:33], v[164:165]
	v_add_f64 v[34:35], v[34:35], v[156:157]
	;; [unrolled: 1-line block ×3, first 2 shown]
	v_lshl_add_u32 v93, v0, 4, v212
	v_mad_legacy_u16 v0, v175, 25, v176
	v_add_f64 v[32:33], v[32:33], v[166:167]
	v_add_f64 v[34:35], v[34:35], v[158:159]
	v_fmac_f64_e32 v[250:251], s[14:15], v[52:53]
	v_fmac_f64_e32 v[230:231], s[14:15], v[52:53]
	v_accvgpr_write_b32 a85, v48
	v_accvgpr_write_b32 a84, v0
	ds_write_b128 v93, v[32:35]
	ds_write_b128 v93, v[40:43] offset:80
	ds_write_b128 v93, v[44:47] offset:160
	;; [unrolled: 1-line block ×4, first 2 shown]
	s_and_saveexec_b64 s[0:1], vcc
	s_cbranch_execz .LBB0_11
; %bb.10:
	v_add_f64 v[0:1], v[130:131], v[170:171]
	v_add_f64 v[0:1], v[0:1], v[152:153]
	;; [unrolled: 1-line block ×7, first 2 shown]
	v_accvgpr_read_b32 v4, a84
	v_add_f64 v[0:1], v[0:1], v[124:125]
	v_lshl_add_u32 v4, v4, 4, v212
	ds_write_b128 v4, v[0:3]
	ds_write_b128 v4, v[244:247] offset:80
	ds_write_b128 v4, v[248:251] offset:160
	;; [unrolled: 1-line block ×4, first 2 shown]
.LBB0_11:
	s_or_b64 exec, exec, s[0:1]
	v_accvgpr_read_b32 v73, a11
	v_mov_b32_e32 v40, 41
	v_accvgpr_read_b32 v72, a10
	v_mul_lo_u16_sdwa v40, v72, v40 dst_sel:DWORD dst_unused:UNUSED_PAD src0_sel:BYTE_0 src1_sel:DWORD
	v_lshrrev_b16_e32 v94, 10, v40
	v_mul_lo_u16_e32 v40, 25, v94
	v_sub_u16_e32 v40, v72, v40
	v_and_b32_e32 v95, 0xff, v40
	s_movk_i32 s0, 0xf0
	v_mov_b64_e32 v[40:41], s[10:11]
	v_mad_u64_u32 v[60:61], s[0:1], v95, s0, v[40:41]
	s_waitcnt lgkmcnt(0)
	s_barrier
	ds_read_b128 v[0:3], v92
	ds_read_b128 v[42:45], v92 offset:1200
	ds_read_b128 v[50:53], v92 offset:2400
	;; [unrolled: 1-line block ×15, first 2 shown]
	global_load_dwordx4 v[124:127], v[60:61], off offset:368
	global_load_dwordx4 v[128:131], v[60:61], off offset:352
	global_load_dwordx4 v[132:135], v[60:61], off offset:336
	global_load_dwordx4 v[148:151], v[60:61], off offset:320
	s_mov_b32 s0, 0x667f3bcd
	s_mov_b32 s1, 0xbfe6a09e
	;; [unrolled: 1-line block ×12, first 2 shown]
	v_accvgpr_write_b32 a65, v212
	s_waitcnt vmcnt(2) lgkmcnt(12)
	v_mul_f64 v[46:47], v[54:55], v[130:131]
	v_fmac_f64_e32 v[46:47], v[56:57], v[128:129]
	s_waitcnt vmcnt(0)
	v_mul_f64 v[40:41], v[44:45], v[150:151]
	v_fma_f64 v[40:41], v[42:43], v[148:149], -v[40:41]
	v_mul_f64 v[42:43], v[42:43], v[150:151]
	v_fmac_f64_e32 v[42:43], v[44:45], v[148:149]
	v_mul_f64 v[44:45], v[52:53], v[134:135]
	v_fma_f64 v[48:49], v[50:51], v[132:133], -v[44:45]
	v_mul_f64 v[50:51], v[50:51], v[134:135]
	v_mul_f64 v[44:45], v[56:57], v[130:131]
	v_fmac_f64_e32 v[50:51], v[52:53], v[132:133]
	v_fma_f64 v[44:45], v[54:55], v[128:129], -v[44:45]
	s_waitcnt lgkmcnt(11)
	v_mul_f64 v[52:53], v[138:139], v[126:127]
	v_mul_f64 v[54:55], v[136:137], v[126:127]
	v_fma_f64 v[52:53], v[136:137], v[124:125], -v[52:53]
	v_fmac_f64_e32 v[54:55], v[138:139], v[124:125]
	global_load_dwordx4 v[136:139], v[60:61], off offset:432
	global_load_dwordx4 v[140:143], v[60:61], off offset:416
	;; [unrolled: 1-line block ×8, first 2 shown]
	s_waitcnt vmcnt(5) lgkmcnt(9)
	v_mul_f64 v[58:59], v[32:33], v[146:147]
	s_waitcnt vmcnt(4)
	v_mul_f64 v[56:57], v[38:39], v[166:167]
	v_fma_f64 v[56:57], v[36:37], v[164:165], -v[56:57]
	v_mul_f64 v[36:37], v[36:37], v[166:167]
	v_fmac_f64_e32 v[36:37], v[38:39], v[164:165]
	v_mul_f64 v[38:39], v[34:35], v[146:147]
	v_fma_f64 v[38:39], v[32:33], v[144:145], -v[38:39]
	s_waitcnt lgkmcnt(8)
	v_mul_f64 v[32:33], v[30:31], v[142:143]
	v_fma_f64 v[32:33], v[28:29], v[140:141], -v[32:33]
	v_mul_f64 v[28:29], v[28:29], v[142:143]
	v_fmac_f64_e32 v[28:29], v[30:31], v[140:141]
	s_waitcnt lgkmcnt(7)
	v_mul_f64 v[30:31], v[26:27], v[138:139]
	v_fma_f64 v[30:31], v[24:25], v[136:137], -v[30:31]
	v_mul_f64 v[24:25], v[24:25], v[138:139]
	v_fmac_f64_e32 v[58:59], v[34:35], v[144:145]
	v_fmac_f64_e32 v[24:25], v[26:27], v[136:137]
	s_waitcnt vmcnt(0) lgkmcnt(6)
	v_mul_f64 v[26:27], v[174:175], v[178:179]
	v_mul_f64 v[34:35], v[172:173], v[178:179]
	s_waitcnt lgkmcnt(5)
	v_mul_f64 v[62:63], v[170:171], v[162:163]
	v_mul_f64 v[186:187], v[168:169], v[162:163]
	v_fma_f64 v[26:27], v[172:173], v[176:177], -v[26:27]
	v_fmac_f64_e32 v[34:35], v[174:175], v[176:177]
	v_fma_f64 v[184:185], v[168:169], v[160:161], -v[62:63]
	v_fmac_f64_e32 v[186:187], v[170:171], v[160:161]
	global_load_dwordx4 v[168:171], v[60:61], off offset:544
	global_load_dwordx4 v[172:175], v[60:61], off offset:528
	;; [unrolled: 1-line block ×3, first 2 shown]
	s_waitcnt lgkmcnt(4)
	v_mul_f64 v[62:63], v[22:23], v[158:159]
	v_fma_f64 v[62:63], v[20:21], v[156:157], -v[62:63]
	v_mul_f64 v[20:21], v[20:21], v[158:159]
	v_fmac_f64_e32 v[20:21], v[22:23], v[156:157]
	s_waitcnt lgkmcnt(3)
	v_mul_f64 v[22:23], v[18:19], v[154:155]
	v_fma_f64 v[22:23], v[16:17], v[152:153], -v[22:23]
	v_mul_f64 v[16:17], v[16:17], v[154:155]
	v_fmac_f64_e32 v[16:17], v[18:19], v[152:153]
	v_add_f64 v[22:23], v[52:53], -v[22:23]
	v_add_f64 v[16:17], v[54:55], -v[16:17]
	;; [unrolled: 1-line block ×8, first 2 shown]
	v_fma_f64 v[2:3], v[2:3], 2.0, -v[24:25]
	v_fma_f64 v[50:51], v[50:51], 2.0, -v[60:61]
	;; [unrolled: 1-line block ×6, first 2 shown]
	s_waitcnt lgkmcnt(0)
	s_barrier
	s_waitcnt vmcnt(0)
	v_mul_f64 v[18:19], v[14:15], v[182:183]
	v_fma_f64 v[18:19], v[12:13], v[180:181], -v[18:19]
	v_mul_f64 v[12:13], v[12:13], v[182:183]
	v_fmac_f64_e32 v[12:13], v[14:15], v[180:181]
	v_mul_f64 v[14:15], v[10:11], v[174:175]
	v_fma_f64 v[14:15], v[8:9], v[172:173], -v[14:15]
	v_mul_f64 v[8:9], v[8:9], v[174:175]
	v_fmac_f64_e32 v[8:9], v[10:11], v[172:173]
	;; [unrolled: 4-line block ×3, first 2 shown]
	v_add_f64 v[6:7], v[0:1], -v[30:31]
	v_fma_f64 v[30:31], v[52:53], 2.0, -v[22:23]
	v_fma_f64 v[52:53], v[54:55], 2.0, -v[16:17]
	v_add_f64 v[54:55], v[48:49], -v[184:185]
	v_add_f64 v[14:15], v[38:39], -v[14:15]
	;; [unrolled: 1-line block ×7, first 2 shown]
	v_fma_f64 v[38:39], v[38:39], 2.0, -v[14:15]
	v_fma_f64 v[58:59], v[58:59], 2.0, -v[8:9]
	;; [unrolled: 1-line block ×6, first 2 shown]
	v_add_f64 v[16:17], v[6:7], -v[16:17]
	v_add_f64 v[22:23], v[24:25], v[22:23]
	v_add_f64 v[8:9], v[54:55], -v[8:9]
	v_add_f64 v[14:15], v[60:61], v[14:15]
	;; [unrolled: 2-line block ×4, first 2 shown]
	v_fma_f64 v[0:1], v[0:1], 2.0, -v[6:7]
	v_fma_f64 v[48:49], v[48:49], 2.0, -v[54:55]
	;; [unrolled: 1-line block ×10, first 2 shown]
	v_add_f64 v[52:53], v[2:3], -v[52:53]
	v_add_f64 v[38:39], v[48:49], -v[38:39]
	;; [unrolled: 1-line block ×6, first 2 shown]
	v_fma_f64 v[188:189], s[0:1], v[54:55], v[6:7]
	v_fma_f64 v[190:191], s[0:1], v[60:61], v[24:25]
	;; [unrolled: 1-line block ×6, first 2 shown]
	v_add_f64 v[30:31], v[0:1], -v[30:31]
	v_add_f64 v[58:59], v[50:51], -v[58:59]
	v_fmac_f64_e32 v[188:189], s[0:1], v[60:61]
	v_fmac_f64_e32 v[190:191], s[2:3], v[54:55]
	v_add_f64 v[60:61], v[52:53], v[38:39]
	v_fmac_f64_e32 v[198:199], s[0:1], v[14:15]
	v_fmac_f64_e32 v[200:201], s[2:3], v[8:9]
	;; [unrolled: 1-line block ×4, first 2 shown]
	v_add_f64 v[62:63], v[56:57], -v[28:29]
	v_add_f64 v[208:209], v[36:37], v[32:33]
	v_fma_f64 v[210:211], s[2:3], v[10:11], v[18:19]
	v_fma_f64 v[2:3], v[2:3], 2.0, -v[52:53]
	v_fma_f64 v[48:49], v[48:49], 2.0, -v[38:39]
	;; [unrolled: 1-line block ×7, first 2 shown]
	v_add_f64 v[58:59], v[30:31], -v[58:59]
	v_fma_f64 v[38:39], v[52:53], 2.0, -v[60:61]
	v_fma_f64 v[52:53], v[16:17], 2.0, -v[198:199]
	;; [unrolled: 1-line block ×7, first 2 shown]
	v_fma_f64 v[56:57], s[2:3], v[4:5], v[12:13]
	v_fmac_f64_e32 v[210:211], s[2:3], v[4:5]
	v_fma_f64 v[0:1], v[0:1], 2.0, -v[30:31]
	v_add_f64 v[50:51], v[2:3], -v[50:51]
	v_fma_f64 v[30:31], v[30:31], 2.0, -v[58:59]
	v_add_f64 v[44:45], v[40:41], -v[44:45]
	v_fmac_f64_e32 v[56:57], s[0:1], v[10:11]
	v_fma_f64 v[32:33], v[18:19], 2.0, -v[210:211]
	v_fma_f64 v[8:9], s[16:17], v[14:15], v[54:55]
	v_fma_f64 v[10:11], s[16:17], v[16:17], v[24:25]
	;; [unrolled: 1-line block ×3, first 2 shown]
	v_fma_f64 v[42:43], v[42:43], 2.0, -v[36:37]
	v_fma_f64 v[46:47], v[46:47], 2.0, -v[28:29]
	;; [unrolled: 1-line block ×3, first 2 shown]
	v_fmac_f64_e32 v[8:9], s[14:15], v[16:17]
	v_fmac_f64_e32 v[10:11], s[18:19], v[14:15]
	v_fma_f64 v[16:17], s[0:1], v[20:21], v[30:31]
	v_fmac_f64_e32 v[18:19], s[2:3], v[20:21]
	v_add_f64 v[34:35], v[50:51], v[44:45]
	v_add_f64 v[48:49], v[0:1], -v[48:49]
	v_fma_f64 v[186:187], v[2:3], 2.0, -v[50:51]
	v_add_f64 v[46:47], v[42:43], -v[46:47]
	v_fma_f64 v[14:15], v[24:25], 2.0, -v[10:11]
	v_fmac_f64_e32 v[16:17], s[0:1], v[22:23]
	v_fma_f64 v[22:23], v[38:39], 2.0, -v[18:19]
	v_fma_f64 v[24:25], s[14:15], v[28:29], v[52:53]
	v_fma_f64 v[38:39], v[50:51], 2.0, -v[34:35]
	v_fma_f64 v[50:51], s[2:3], v[208:209], v[60:61]
	v_fma_f64 v[26:27], s[14:15], v[32:33], v[202:203]
	v_fmac_f64_e32 v[24:25], s[16:17], v[32:33]
	v_add_f64 v[32:33], v[48:49], -v[46:47]
	v_fmac_f64_e32 v[50:51], s[2:3], v[62:63]
	v_fma_f64 v[184:185], v[0:1], 2.0, -v[48:49]
	v_fma_f64 v[0:1], v[40:41], 2.0, -v[44:45]
	;; [unrolled: 1-line block ×5, first 2 shown]
	v_fma_f64 v[40:41], s[18:19], v[204:205], v[188:189]
	v_fma_f64 v[42:43], s[18:19], v[206:207], v[190:191]
	;; [unrolled: 1-line block ×3, first 2 shown]
	v_fma_f64 v[54:55], v[60:61], 2.0, -v[50:51]
	v_mul_u32_u24_e32 v60, 0x190, v94
	v_add_f64 v[0:1], v[184:185], -v[0:1]
	v_add_f64 v[2:3], v[186:187], -v[2:3]
	v_fmac_f64_e32 v[26:27], s[20:21], v[28:29]
	v_fmac_f64_e32 v[40:41], s[16:17], v[206:207]
	v_fmac_f64_e32 v[42:43], s[20:21], v[204:205]
	v_fmac_f64_e32 v[48:49], s[0:1], v[208:209]
	v_fma_f64 v[240:241], s[20:21], v[56:57], v[198:199]
	v_fma_f64 v[242:243], s[20:21], v[210:211], v[200:201]
	v_add_u32_e32 v60, v60, v95
	v_fma_f64 v[4:5], v[184:185], 2.0, -v[0:1]
	v_fma_f64 v[6:7], v[186:187], 2.0, -v[2:3]
	;; [unrolled: 1-line block ×8, first 2 shown]
	v_fmac_f64_e32 v[240:241], s[14:15], v[210:211]
	v_fmac_f64_e32 v[242:243], s[18:19], v[56:57]
	v_lshl_add_u32 v94, v60, 4, v212
	v_fma_f64 v[56:57], v[198:199], 2.0, -v[240:241]
	v_fma_f64 v[58:59], v[200:201], 2.0, -v[242:243]
	ds_write_b128 v94, v[4:7]
	ds_write_b128 v94, v[12:15] offset:400
	ds_write_b128 v94, v[20:23] offset:800
	;; [unrolled: 1-line block ×15, first 2 shown]
	s_waitcnt lgkmcnt(0)
	s_barrier
	ds_read_b128 v[12:15], v92
	ds_read_b128 v[52:55], v92 offset:6400
	ds_read_b128 v[48:51], v92 offset:12800
	;; [unrolled: 1-line block ×14, first 2 shown]
	v_cmp_gt_u16_e64 s[0:1], 25, v72
	s_and_saveexec_b64 s[2:3], s[0:1]
	s_cbranch_execz .LBB0_13
; %bb.12:
	ds_read_b128 v[240:243], v92 offset:6000
	ds_read_b128 v[244:247], v92 offset:12400
	;; [unrolled: 1-line block ×3, first 2 shown]
.LBB0_13:
	s_or_b64 exec, exec, s[2:3]
	v_accvgpr_read_b32 v65, a11
	v_accvgpr_read_b32 v64, a10
	v_lshlrev_b32_e32 v56, 5, v64
	v_mov_b32_e32 v57, 0
	s_mov_b64 s[2:3], 0x177
	v_lshl_add_u64 v[58:59], s[10:11], 0, v[56:57]
	s_mov_b64 s[14:15], 0x18b0
	s_movk_i32 s16, 0x1000
	v_lshl_add_u64 v[60:61], v[64:65], 0, s[2:3]
	v_lshl_add_u64 v[62:63], v[58:59], 0, s[14:15]
	v_add_co_u32_e64 v58, s[2:3], s16, v58
	v_add_u32_e32 v56, 0x2580, v56
	s_nop 0
	v_addc_co_u32_e64 v59, s[2:3], 0, v59, s[2:3]
	global_load_dwordx4 v[184:187], v[58:59], off offset:2224
	global_load_dwordx4 v[188:191], v[62:63], off offset:16
	s_waitcnt vmcnt(1) lgkmcnt(13)
	v_mul_f64 v[58:59], v[54:55], v[186:187]
	v_fma_f64 v[58:59], v[52:53], v[184:185], -v[58:59]
	v_mul_f64 v[52:53], v[52:53], v[186:187]
	v_fmac_f64_e32 v[52:53], v[54:55], v[184:185]
	s_waitcnt vmcnt(0) lgkmcnt(12)
	v_mul_f64 v[54:55], v[50:51], v[190:191]
	v_fma_f64 v[54:55], v[48:49], v[188:189], -v[54:55]
	v_mul_f64 v[48:49], v[48:49], v[190:191]
	v_fmac_f64_e32 v[48:49], v[50:51], v[188:189]
	v_lshlrev_b32_e32 v50, 5, v196
	v_mov_b32_e32 v51, v57
	v_lshl_add_u64 v[50:51], s[10:11], 0, v[50:51]
	v_lshl_add_u64 v[62:63], v[50:51], 0, s[14:15]
	v_add_co_u32_e64 v50, s[2:3], s16, v50
	s_nop 1
	v_addc_co_u32_e64 v51, s[2:3], 0, v51, s[2:3]
	global_load_dwordx4 v[200:203], v[50:51], off offset:2224
	global_load_dwordx4 v[204:207], v[62:63], off offset:16
	s_waitcnt vmcnt(1) lgkmcnt(10)
	v_mul_f64 v[50:51], v[42:43], v[202:203]
	v_fma_f64 v[50:51], v[40:41], v[200:201], -v[50:51]
	v_mul_f64 v[40:41], v[40:41], v[202:203]
	v_fmac_f64_e32 v[40:41], v[42:43], v[200:201]
	s_waitcnt vmcnt(0) lgkmcnt(9)
	v_mul_f64 v[42:43], v[46:47], v[206:207]
	v_fma_f64 v[42:43], v[44:45], v[204:205], -v[42:43]
	v_mul_f64 v[44:45], v[44:45], v[206:207]
	v_fmac_f64_e32 v[44:45], v[46:47], v[204:205]
	v_lshlrev_b32_e32 v46, 5, v194
	v_mov_b32_e32 v47, v57
	v_lshl_add_u64 v[46:47], s[10:11], 0, v[46:47]
	v_lshl_add_u64 v[62:63], v[46:47], 0, s[14:15]
	v_add_co_u32_e64 v46, s[2:3], s16, v46
	;; [unrolled: 19-line block ×3, first 2 shown]
	s_nop 1
	v_addc_co_u32_e64 v35, s[2:3], 0, v35, s[2:3]
	global_load_dwordx4 v[216:219], v[34:35], off offset:2224
	global_load_dwordx4 v[220:223], v[62:63], off offset:16
	s_waitcnt vmcnt(1) lgkmcnt(4)
	v_mul_f64 v[34:35], v[26:27], v[218:219]
	v_fma_f64 v[34:35], v[24:25], v[216:217], -v[34:35]
	v_mul_f64 v[24:25], v[24:25], v[218:219]
	v_fmac_f64_e32 v[24:25], v[26:27], v[216:217]
	s_waitcnt vmcnt(0) lgkmcnt(3)
	v_mul_f64 v[26:27], v[30:31], v[222:223]
	v_fma_f64 v[26:27], v[28:29], v[220:221], -v[26:27]
	v_mul_f64 v[28:29], v[28:29], v[222:223]
	v_fmac_f64_e32 v[28:29], v[30:31], v[220:221]
	v_lshl_add_u64 v[30:31], s[10:11], 0, v[56:57]
	v_lshl_add_u64 v[62:63], v[30:31], 0, s[14:15]
	v_add_co_u32_e64 v30, s[2:3], s16, v30
	s_nop 1
	v_addc_co_u32_e64 v31, s[2:3], 0, v31, s[2:3]
	global_load_dwordx4 v[232:235], v[30:31], off offset:2224
	global_load_dwordx4 v[236:239], v[62:63], off offset:16
	s_movk_i32 s2, 0xffe7
	s_mov_b32 s3, -1
	s_waitcnt vmcnt(1) lgkmcnt(1)
	v_mul_f64 v[30:31], v[22:23], v[234:235]
	v_fma_f64 v[30:31], v[20:21], v[232:233], -v[30:31]
	v_mul_f64 v[20:21], v[20:21], v[234:235]
	v_fmac_f64_e32 v[20:21], v[22:23], v[232:233]
	s_waitcnt vmcnt(0) lgkmcnt(0)
	v_mul_f64 v[22:23], v[18:19], v[238:239]
	v_fma_f64 v[22:23], v[16:17], v[236:237], -v[22:23]
	v_mul_f64 v[16:17], v[16:17], v[238:239]
	v_fmac_f64_e32 v[16:17], v[18:19], v[236:237]
	v_lshl_add_u64 v[18:19], v[64:65], 0, s[2:3]
	v_cndmask_b32_e64 v19, v19, v61, s[0:1]
	v_cndmask_b32_e64 v18, v18, v60, s[0:1]
	v_lshlrev_b64 v[18:19], 5, v[18:19]
	v_lshl_add_u64 v[18:19], s[10:11], 0, v[18:19]
	v_lshl_add_u64 v[60:61], v[18:19], 0, s[14:15]
	v_add_co_u32_e64 v18, s[2:3], s16, v18
	s_mov_b32 s11, 0xbfebb67a
	s_nop 0
	v_addc_co_u32_e64 v19, s[2:3], 0, v19, s[2:3]
	global_load_dwordx4 v[192:195], v[18:19], off offset:2224
	s_nop 0
	global_load_dwordx4 v[60:63], v[60:61], off offset:16
	s_mov_b32 s2, 0xe8584caa
	s_mov_b32 s3, 0x3febb67a
	;; [unrolled: 1-line block ×3, first 2 shown]
	s_waitcnt vmcnt(1)
	v_mul_f64 v[18:19], v[246:247], v[194:195]
	v_fma_f64 v[196:197], v[244:245], v[192:193], -v[18:19]
	s_waitcnt vmcnt(0)
	v_mul_f64 v[18:19], v[250:251], v[62:63]
	v_fma_f64 v[72:73], v[248:249], v[60:61], -v[18:19]
	v_mul_f64 v[78:79], v[248:249], v[62:63]
	v_accvgpr_write_b32 a95, v63
	v_add_f64 v[18:19], v[12:13], v[58:59]
	v_accvgpr_write_b32 a94, v62
	v_accvgpr_write_b32 a93, v61
	;; [unrolled: 1-line block ×3, first 2 shown]
	v_fmac_f64_e32 v[78:79], v[250:251], v[60:61]
	v_add_f64 v[60:61], v[18:19], v[54:55]
	v_add_f64 v[18:19], v[58:59], v[54:55]
	v_mul_f64 v[198:199], v[244:245], v[194:195]
	v_accvgpr_write_b32 a88, v192
	v_fmac_f64_e32 v[12:13], -0.5, v[18:19]
	v_add_f64 v[18:19], v[52:53], -v[48:49]
	v_accvgpr_write_b32 a89, v193
	v_accvgpr_write_b32 a90, v194
	;; [unrolled: 1-line block ×3, first 2 shown]
	v_fmac_f64_e32 v[198:199], v[246:247], v[192:193]
	v_fma_f64 v[192:193], s[2:3], v[18:19], v[12:13]
	v_fmac_f64_e32 v[12:13], s[10:11], v[18:19]
	v_add_f64 v[18:19], v[14:15], v[52:53]
	v_add_f64 v[62:63], v[18:19], v[48:49]
	v_add_f64 v[18:19], v[52:53], v[48:49]
	v_fmac_f64_e32 v[14:15], -0.5, v[18:19]
	v_add_f64 v[18:19], v[58:59], -v[54:55]
	v_fma_f64 v[194:195], s[10:11], v[18:19], v[14:15]
	v_fmac_f64_e32 v[14:15], s[2:3], v[18:19]
	v_add_f64 v[18:19], v[8:9], v[50:51]
	v_add_f64 v[52:53], v[18:19], v[42:43]
	v_add_f64 v[18:19], v[50:51], v[42:43]
	v_fmac_f64_e32 v[8:9], -0.5, v[18:19]
	v_add_f64 v[18:19], v[40:41], -v[44:45]
	v_fma_f64 v[48:49], s[2:3], v[18:19], v[8:9]
	v_fmac_f64_e32 v[8:9], s[10:11], v[18:19]
	v_add_f64 v[18:19], v[10:11], v[40:41]
	v_add_f64 v[54:55], v[18:19], v[44:45]
	v_add_f64 v[18:19], v[40:41], v[44:45]
	v_fmac_f64_e32 v[10:11], -0.5, v[18:19]
	v_add_f64 v[18:19], v[50:51], -v[42:43]
	v_fma_f64 v[50:51], s[10:11], v[18:19], v[10:11]
	v_fmac_f64_e32 v[10:11], s[2:3], v[18:19]
	v_add_f64 v[18:19], v[4:5], v[46:47]
	v_add_f64 v[40:41], v[18:19], v[38:39]
	v_add_f64 v[18:19], v[46:47], v[38:39]
	v_fmac_f64_e32 v[4:5], -0.5, v[18:19]
	v_add_f64 v[18:19], v[36:37], -v[32:33]
	v_fma_f64 v[44:45], s[2:3], v[18:19], v[4:5]
	v_fmac_f64_e32 v[4:5], s[10:11], v[18:19]
	v_add_f64 v[18:19], v[6:7], v[36:37]
	v_add_f64 v[42:43], v[18:19], v[32:33]
	v_add_f64 v[18:19], v[36:37], v[32:33]
	v_fmac_f64_e32 v[6:7], -0.5, v[18:19]
	v_add_f64 v[18:19], v[46:47], -v[38:39]
	v_fma_f64 v[46:47], s[10:11], v[18:19], v[6:7]
	v_fmac_f64_e32 v[6:7], s[2:3], v[18:19]
	v_add_f64 v[18:19], v[0:1], v[34:35]
	v_add_f64 v[36:37], v[18:19], v[26:27]
	v_add_f64 v[18:19], v[34:35], v[26:27]
	v_fmac_f64_e32 v[0:1], -0.5, v[18:19]
	v_add_f64 v[18:19], v[24:25], -v[28:29]
	v_fma_f64 v[32:33], s[2:3], v[18:19], v[0:1]
	v_fmac_f64_e32 v[0:1], s[10:11], v[18:19]
	v_add_f64 v[18:19], v[2:3], v[24:25]
	v_add_f64 v[38:39], v[18:19], v[28:29]
	v_add_f64 v[18:19], v[24:25], v[28:29]
	v_fmac_f64_e32 v[2:3], -0.5, v[18:19]
	v_add_f64 v[18:19], v[34:35], -v[26:27]
	v_fma_f64 v[34:35], s[10:11], v[18:19], v[2:3]
	v_fmac_f64_e32 v[2:3], s[2:3], v[18:19]
	v_add_f64 v[18:19], v[252:253], v[30:31]
	v_add_f64 v[24:25], v[18:19], v[22:23]
	v_add_f64 v[18:19], v[30:31], v[22:23]
	v_fmac_f64_e32 v[252:253], -0.5, v[18:19]
	v_add_f64 v[26:27], v[20:21], -v[16:17]
	v_fma_f64 v[18:19], s[2:3], v[26:27], v[252:253]
	v_fmac_f64_e32 v[252:253], s[10:11], v[26:27]
	v_add_f64 v[26:27], v[254:255], v[20:21]
	v_add_f64 v[26:27], v[26:27], v[16:17]
	v_add_f64 v[16:17], v[20:21], v[16:17]
	v_fmac_f64_e32 v[254:255], -0.5, v[16:17]
	v_add_f64 v[16:17], v[30:31], -v[22:23]
	v_fma_f64 v[20:21], s[10:11], v[16:17], v[254:255]
	v_fmac_f64_e32 v[254:255], s[2:3], v[16:17]
	v_add_f64 v[16:17], v[240:241], v[196:197]
	v_add_f64 v[244:245], v[16:17], v[72:73]
	v_add_f64 v[16:17], v[196:197], v[72:73]
	v_fmac_f64_e32 v[240:241], -0.5, v[16:17]
	v_add_f64 v[16:17], v[198:199], -v[78:79]
	v_fma_f64 v[248:249], s[2:3], v[16:17], v[240:241]
	v_fmac_f64_e32 v[240:241], s[10:11], v[16:17]
	v_add_f64 v[16:17], v[242:243], v[198:199]
	v_add_f64 v[246:247], v[16:17], v[78:79]
	v_add_f64 v[16:17], v[198:199], v[78:79]
	v_fmac_f64_e32 v[242:243], -0.5, v[16:17]
	v_add_f64 v[16:17], v[196:197], -v[72:73]
	v_fma_f64 v[250:251], s[10:11], v[16:17], v[242:243]
	v_fmac_f64_e32 v[242:243], s[2:3], v[16:17]
	v_accvgpr_read_b32 v16, a65
	v_lshl_add_u32 v95, v64, 4, v16
	ds_write_b128 v92, v[60:63]
	ds_write_b128 v95, v[192:195] offset:6400
	ds_write_b128 v95, v[12:15] offset:12800
	;; [unrolled: 1-line block ×14, first 2 shown]
	s_and_saveexec_b64 s[2:3], s[0:1]
	s_cbranch_execz .LBB0_15
; %bb.14:
	ds_write_b128 v95, v[244:247] offset:6000
	ds_write_b128 v95, v[248:251] offset:12400
	ds_write_b128 v95, v[240:243] offset:18800
.LBB0_15:
	s_or_b64 exec, exec, s[2:3]
	v_accvgpr_read_b32 v0, a10
	v_lshlrev_b32_e32 v56, 4, v0
	v_lshl_add_u64 v[6:7], s[12:13], 0, v[56:57]
	s_mov_b64 s[2:3], 0x4b00
	s_movk_i32 s12, 0x4000
	v_lshl_add_u64 v[4:5], v[6:7], 0, s[2:3]
	v_add_co_u32_e64 v8, s[2:3], s12, v6
	s_waitcnt lgkmcnt(0)
	s_nop 0
	v_addc_co_u32_e64 v9, s[2:3], 0, v7, s[2:3]
	s_barrier
	global_load_dwordx4 v[8:11], v[8:9], off offset:2816
	ds_read_b128 v[0:3], v92
	s_movk_i32 s2, 0x6000
	s_waitcnt vmcnt(0) lgkmcnt(0)
	v_mul_f64 v[12:13], v[2:3], v[10:11]
	v_mul_f64 v[14:15], v[0:1], v[10:11]
	v_fma_f64 v[12:13], v[0:1], v[8:9], -v[12:13]
	v_fmac_f64_e32 v[14:15], v[2:3], v[8:9]
	global_load_dwordx4 v[8:11], v[4:5], off offset:3840
	ds_read_b128 v[0:3], v92 offset:3840
	ds_write_b128 v92, v[12:15]
	s_waitcnt vmcnt(0) lgkmcnt(1)
	v_mul_f64 v[14:15], v[0:1], v[10:11]
	v_mul_f64 v[12:13], v[2:3], v[10:11]
	v_fmac_f64_e32 v[14:15], v[2:3], v[8:9]
	v_add_co_u32_e64 v2, s[2:3], s2, v6
	v_fma_f64 v[12:13], v[0:1], v[8:9], -v[12:13]
	s_nop 0
	v_addc_co_u32_e64 v3, s[2:3], 0, v7, s[2:3]
	ds_write_b128 v92, v[12:15] offset:3840
	global_load_dwordx4 v[12:15], v[2:3], off offset:2304
	ds_read_b128 v[8:11], v92 offset:7680
	s_movk_i32 s2, 0x7000
	s_waitcnt vmcnt(0) lgkmcnt(0)
	v_mul_f64 v[0:1], v[10:11], v[14:15]
	v_fma_f64 v[16:17], v[8:9], v[12:13], -v[0:1]
	v_mul_f64 v[18:19], v[8:9], v[14:15]
	v_add_co_u32_e64 v8, s[2:3], s2, v6
	v_fmac_f64_e32 v[18:19], v[10:11], v[12:13]
	s_nop 0
	v_addc_co_u32_e64 v9, s[2:3], 0, v7, s[2:3]
	ds_write_b128 v92, v[16:19] offset:7680
	global_load_dwordx4 v[14:17], v[8:9], off offset:2048
	ds_read_b128 v[10:13], v92 offset:11520
	s_mov_b32 s2, 0x8000
	s_waitcnt vmcnt(0) lgkmcnt(0)
	v_mul_f64 v[0:1], v[12:13], v[16:17]
	v_fma_f64 v[18:19], v[10:11], v[14:15], -v[0:1]
	v_add_co_u32_e64 v0, s[2:3], s2, v6
	v_mul_f64 v[20:21], v[10:11], v[16:17]
	s_nop 0
	v_addc_co_u32_e64 v1, s[2:3], 0, v7, s[2:3]
	v_fmac_f64_e32 v[20:21], v[12:13], v[14:15]
	global_load_dwordx4 v[14:17], v[0:1], off offset:1792
	ds_read_b128 v[10:13], v92 offset:15360
	ds_write_b128 v92, v[18:21] offset:11520
	s_movk_i32 s2, 0x5000
	s_waitcnt vmcnt(0) lgkmcnt(1)
	v_mul_f64 v[18:19], v[12:13], v[16:17]
	v_mul_f64 v[20:21], v[10:11], v[16:17]
	v_fma_f64 v[18:19], v[10:11], v[14:15], -v[18:19]
	v_fmac_f64_e32 v[20:21], v[12:13], v[14:15]
	global_load_dwordx4 v[14:17], v[4:5], off offset:1200
	ds_read_b128 v[10:13], v92 offset:1200
	ds_write_b128 v92, v[18:21] offset:15360
	s_waitcnt vmcnt(0) lgkmcnt(1)
	v_mul_f64 v[18:19], v[12:13], v[16:17]
	v_mul_f64 v[20:21], v[10:11], v[16:17]
	v_fma_f64 v[18:19], v[10:11], v[14:15], -v[18:19]
	v_fmac_f64_e32 v[20:21], v[12:13], v[14:15]
	v_add_co_u32_e64 v14, s[2:3], s2, v6
	ds_read_b128 v[10:13], v92 offset:5040
	s_nop 0
	v_addc_co_u32_e64 v15, s[2:3], 0, v7, s[2:3]
	global_load_dwordx4 v[14:17], v[14:15], off offset:3760
	ds_write_b128 v92, v[18:21] offset:1200
	s_mov_b32 s2, 0x9000
	v_add_co_u32_e64 v6, s[2:3], s2, v6
	s_waitcnt vmcnt(0) lgkmcnt(1)
	v_mul_f64 v[18:19], v[12:13], v[16:17]
	v_mul_f64 v[20:21], v[10:11], v[16:17]
	v_fma_f64 v[18:19], v[10:11], v[14:15], -v[18:19]
	v_fmac_f64_e32 v[20:21], v[12:13], v[14:15]
	global_load_dwordx4 v[14:17], v[2:3], off offset:3504
	ds_read_b128 v[10:13], v92 offset:8880
	ds_write_b128 v92, v[18:21] offset:5040
	v_addc_co_u32_e64 v7, s[2:3], 0, v7, s[2:3]
	s_waitcnt vmcnt(0) lgkmcnt(1)
	v_mul_f64 v[18:19], v[12:13], v[16:17]
	v_mul_f64 v[20:21], v[10:11], v[16:17]
	v_fma_f64 v[18:19], v[10:11], v[14:15], -v[18:19]
	v_fmac_f64_e32 v[20:21], v[12:13], v[14:15]
	global_load_dwordx4 v[14:17], v[8:9], off offset:3248
	ds_read_b128 v[10:13], v92 offset:12720
	ds_write_b128 v92, v[18:21] offset:8880
	s_waitcnt vmcnt(0) lgkmcnt(1)
	v_mul_f64 v[18:19], v[12:13], v[16:17]
	v_mul_f64 v[20:21], v[10:11], v[16:17]
	v_fma_f64 v[18:19], v[10:11], v[14:15], -v[18:19]
	v_fmac_f64_e32 v[20:21], v[12:13], v[14:15]
	global_load_dwordx4 v[14:17], v[0:1], off offset:2992
	ds_read_b128 v[10:13], v92 offset:16560
	ds_write_b128 v92, v[18:21] offset:12720
	;; [unrolled: 8-line block ×5, first 2 shown]
	s_waitcnt vmcnt(0) lgkmcnt(1)
	v_mul_f64 v[2:3], v[12:13], v[16:17]
	v_fma_f64 v[8:9], v[10:11], v[14:15], -v[2:3]
	global_load_dwordx4 v[0:3], v[0:1], off offset:352
	v_mul_f64 v[10:11], v[10:11], v[16:17]
	v_fmac_f64_e32 v[10:11], v[12:13], v[14:15]
	ds_write_b128 v92, v[8:11] offset:10080
	ds_read_b128 v[8:11], v92 offset:13920
	s_waitcnt vmcnt(0) lgkmcnt(0)
	v_mul_f64 v[12:13], v[10:11], v[2:3]
	v_fma_f64 v[12:13], v[8:9], v[0:1], -v[12:13]
	v_mul_f64 v[14:15], v[8:9], v[2:3]
	global_load_dwordx4 v[6:9], v[6:7], off offset:96
	v_fmac_f64_e32 v[14:15], v[10:11], v[0:1]
	ds_read_b128 v[0:3], v92 offset:17760
	ds_write_b128 v92, v[12:15] offset:13920
	s_waitcnt vmcnt(0) lgkmcnt(1)
	v_mul_f64 v[10:11], v[2:3], v[8:9]
	v_mul_f64 v[12:13], v[0:1], v[8:9]
	v_fma_f64 v[10:11], v[0:1], v[6:7], -v[10:11]
	v_fmac_f64_e32 v[12:13], v[2:3], v[6:7]
	ds_write_b128 v92, v[10:13] offset:17760
	s_and_saveexec_b64 s[10:11], vcc
	s_cbranch_execz .LBB0_17
; %bb.16:
	global_load_dwordx4 v[6:9], v[4:5], off offset:3600
	ds_read_b128 v[0:3], v95 offset:3600
	s_movk_i32 s2, 0x1000
	s_waitcnt vmcnt(0) lgkmcnt(0)
	v_mul_f64 v[10:11], v[2:3], v[8:9]
	v_mul_f64 v[12:13], v[0:1], v[8:9]
	v_fma_f64 v[10:11], v[0:1], v[6:7], -v[10:11]
	v_fmac_f64_e32 v[12:13], v[2:3], v[6:7]
	v_add_co_u32_e64 v6, s[2:3], s2, v4
	ds_write_b128 v95, v[10:13] offset:3600
	s_nop 0
	v_addc_co_u32_e64 v7, s[2:3], 0, v5, s[2:3]
	global_load_dwordx4 v[6:9], v[6:7], off offset:3344
	ds_read_b128 v[0:3], v92 offset:7440
	s_movk_i32 s2, 0x2000
	s_waitcnt vmcnt(0) lgkmcnt(0)
	v_mul_f64 v[10:11], v[2:3], v[8:9]
	v_mul_f64 v[12:13], v[0:1], v[8:9]
	v_fma_f64 v[10:11], v[0:1], v[6:7], -v[10:11]
	v_fmac_f64_e32 v[12:13], v[2:3], v[6:7]
	v_add_co_u32_e64 v6, s[2:3], s2, v4
	ds_read_b128 v[0:3], v92 offset:11280
	s_nop 0
	v_addc_co_u32_e64 v7, s[2:3], 0, v5, s[2:3]
	global_load_dwordx4 v[6:9], v[6:7], off offset:3088
	ds_write_b128 v92, v[10:13] offset:7440
	s_movk_i32 s2, 0x3000
	s_waitcnt vmcnt(0) lgkmcnt(1)
	v_mul_f64 v[10:11], v[2:3], v[8:9]
	v_mul_f64 v[12:13], v[0:1], v[8:9]
	v_fma_f64 v[10:11], v[0:1], v[6:7], -v[10:11]
	v_fmac_f64_e32 v[12:13], v[2:3], v[6:7]
	v_add_co_u32_e64 v6, s[2:3], s2, v4
	ds_read_b128 v[0:3], v92 offset:15120
	s_nop 0
	v_addc_co_u32_e64 v7, s[2:3], 0, v5, s[2:3]
	global_load_dwordx4 v[6:9], v[6:7], off offset:2832
	v_add_co_u32_e64 v4, s[2:3], s12, v4
	ds_write_b128 v92, v[10:13] offset:11280
	s_nop 0
	v_addc_co_u32_e64 v5, s[2:3], 0, v5, s[2:3]
	s_waitcnt vmcnt(0) lgkmcnt(1)
	v_mul_f64 v[10:11], v[2:3], v[8:9]
	v_mul_f64 v[12:13], v[0:1], v[8:9]
	v_fma_f64 v[10:11], v[0:1], v[6:7], -v[10:11]
	v_fmac_f64_e32 v[12:13], v[2:3], v[6:7]
	global_load_dwordx4 v[4:7], v[4:5], off offset:2576
	ds_read_b128 v[0:3], v92 offset:18960
	ds_write_b128 v92, v[10:13] offset:15120
	s_waitcnt vmcnt(0) lgkmcnt(1)
	v_mul_f64 v[8:9], v[2:3], v[6:7]
	v_mul_f64 v[10:11], v[0:1], v[6:7]
	v_fma_f64 v[8:9], v[0:1], v[4:5], -v[8:9]
	v_fmac_f64_e32 v[10:11], v[2:3], v[4:5]
	ds_write_b128 v92, v[8:11] offset:18960
.LBB0_17:
	s_or_b64 exec, exec, s[10:11]
	s_waitcnt lgkmcnt(0)
	s_barrier
	ds_read_b128 v[8:11], v92
	ds_read_b128 v[4:7], v92 offset:1200
	ds_read_b128 v[56:59], v92 offset:7680
	;; [unrolled: 1-line block ×14, first 2 shown]
	s_and_saveexec_b64 s[2:3], vcc
	s_cbranch_execz .LBB0_19
; %bb.18:
	ds_read_b128 v[244:247], v95 offset:3600
	ds_read_b128 v[248:251], v95 offset:7440
	;; [unrolled: 1-line block ×5, first 2 shown]
.LBB0_19:
	s_or_b64 exec, exec, s[2:3]
	s_waitcnt lgkmcnt(8)
	v_add_f64 v[40:41], v[8:9], v[196:197]
	v_add_f64 v[40:41], v[40:41], v[56:57]
	s_waitcnt lgkmcnt(4)
	v_add_f64 v[40:41], v[40:41], v[60:61]
	v_add_f64 v[44:45], v[40:41], v[192:193]
	;; [unrolled: 1-line block ×3, first 2 shown]
	s_mov_b32 s10, 0x134454ff
	v_fma_f64 v[40:41], -0.5, v[40:41], v[8:9]
	v_add_f64 v[42:43], v[198:199], -v[194:195]
	s_mov_b32 s11, 0xbfee6f0e
	s_mov_b32 s2, 0x4755a5e
	;; [unrolled: 1-line block ×4, first 2 shown]
	v_fma_f64 v[48:49], s[10:11], v[42:43], v[40:41]
	v_add_f64 v[46:47], v[58:59], -v[62:63]
	s_mov_b32 s3, 0xbfe2cf23
	v_add_f64 v[50:51], v[196:197], -v[56:57]
	v_add_f64 v[52:53], v[192:193], -v[60:61]
	s_mov_b32 s12, 0x372fe950
	v_fmac_f64_e32 v[40:41], s[14:15], v[42:43]
	s_mov_b32 s17, 0x3fe2cf23
	s_mov_b32 s16, s2
	v_fmac_f64_e32 v[48:49], s[2:3], v[46:47]
	v_add_f64 v[50:51], v[50:51], v[52:53]
	s_mov_b32 s13, 0x3fd3c6ef
	v_fmac_f64_e32 v[40:41], s[16:17], v[46:47]
	v_fmac_f64_e32 v[48:49], s[12:13], v[50:51]
	v_fmac_f64_e32 v[40:41], s[12:13], v[50:51]
	v_add_f64 v[50:51], v[196:197], v[192:193]
	v_fmac_f64_e32 v[8:9], -0.5, v[50:51]
	v_fma_f64 v[52:53], s[14:15], v[46:47], v[8:9]
	v_fmac_f64_e32 v[8:9], s[10:11], v[46:47]
	v_fmac_f64_e32 v[52:53], s[2:3], v[42:43]
	;; [unrolled: 1-line block ×3, first 2 shown]
	v_add_f64 v[42:43], v[10:11], v[198:199]
	v_add_f64 v[42:43], v[42:43], v[58:59]
	;; [unrolled: 1-line block ×3, first 2 shown]
	v_add_f64 v[50:51], v[56:57], -v[196:197]
	v_add_f64 v[54:55], v[60:61], -v[192:193]
	v_add_f64 v[46:47], v[42:43], v[194:195]
	v_add_f64 v[42:43], v[58:59], v[62:63]
	;; [unrolled: 1-line block ×3, first 2 shown]
	v_fma_f64 v[42:43], -0.5, v[42:43], v[10:11]
	v_add_f64 v[72:73], v[196:197], -v[192:193]
	v_fmac_f64_e32 v[52:53], s[12:13], v[50:51]
	v_fmac_f64_e32 v[8:9], s[12:13], v[50:51]
	v_fma_f64 v[50:51], s[14:15], v[72:73], v[42:43]
	v_add_f64 v[56:57], v[56:57], -v[60:61]
	v_add_f64 v[54:55], v[198:199], -v[58:59]
	;; [unrolled: 1-line block ×3, first 2 shown]
	v_fmac_f64_e32 v[42:43], s[10:11], v[72:73]
	v_fmac_f64_e32 v[50:51], s[16:17], v[56:57]
	v_add_f64 v[54:55], v[54:55], v[60:61]
	v_fmac_f64_e32 v[42:43], s[2:3], v[56:57]
	v_fmac_f64_e32 v[50:51], s[12:13], v[54:55]
	v_fmac_f64_e32 v[42:43], s[12:13], v[54:55]
	v_add_f64 v[54:55], v[198:199], v[194:195]
	v_fmac_f64_e32 v[10:11], -0.5, v[54:55]
	v_fma_f64 v[54:55], s[10:11], v[56:57], v[10:11]
	v_fmac_f64_e32 v[10:11], s[14:15], v[56:57]
	v_add_f64 v[56:57], v[4:5], v[32:33]
	v_add_f64 v[56:57], v[56:57], v[24:25]
	v_add_f64 v[58:59], v[58:59], -v[198:199]
	v_add_f64 v[60:61], v[62:63], -v[194:195]
	s_waitcnt lgkmcnt(2)
	v_add_f64 v[56:57], v[56:57], v[36:37]
	v_fmac_f64_e32 v[54:55], s[16:17], v[72:73]
	v_add_f64 v[58:59], v[58:59], v[60:61]
	v_fmac_f64_e32 v[10:11], s[2:3], v[72:73]
	v_add_f64 v[60:61], v[56:57], v[28:29]
	v_add_f64 v[56:57], v[24:25], v[36:37]
	v_fmac_f64_e32 v[54:55], s[12:13], v[58:59]
	v_fmac_f64_e32 v[10:11], s[12:13], v[58:59]
	v_fma_f64 v[56:57], -0.5, v[56:57], v[4:5]
	v_add_f64 v[58:59], v[34:35], -v[30:31]
	v_fma_f64 v[192:193], s[10:11], v[58:59], v[56:57]
	v_add_f64 v[62:63], v[26:27], -v[38:39]
	v_add_f64 v[72:73], v[32:33], -v[24:25]
	;; [unrolled: 1-line block ×3, first 2 shown]
	v_fmac_f64_e32 v[56:57], s[14:15], v[58:59]
	v_fmac_f64_e32 v[192:193], s[2:3], v[62:63]
	v_add_f64 v[72:73], v[72:73], v[78:79]
	v_fmac_f64_e32 v[56:57], s[16:17], v[62:63]
	v_fmac_f64_e32 v[192:193], s[12:13], v[72:73]
	;; [unrolled: 1-line block ×3, first 2 shown]
	v_add_f64 v[72:73], v[32:33], v[28:29]
	v_fmac_f64_e32 v[4:5], -0.5, v[72:73]
	v_fma_f64 v[196:197], s[14:15], v[62:63], v[4:5]
	v_fmac_f64_e32 v[4:5], s[10:11], v[62:63]
	v_fmac_f64_e32 v[196:197], s[2:3], v[58:59]
	;; [unrolled: 1-line block ×3, first 2 shown]
	v_add_f64 v[58:59], v[6:7], v[34:35]
	v_add_f64 v[58:59], v[58:59], v[26:27]
	;; [unrolled: 1-line block ×5, first 2 shown]
	v_add_f64 v[78:79], v[36:37], -v[28:29]
	v_fma_f64 v[58:59], -0.5, v[58:59], v[6:7]
	v_add_f64 v[28:29], v[32:33], -v[28:29]
	v_add_f64 v[72:73], v[24:25], -v[32:33]
	v_fma_f64 v[194:195], s[14:15], v[28:29], v[58:59]
	v_add_f64 v[24:25], v[24:25], -v[36:37]
	v_add_f64 v[32:33], v[34:35], -v[26:27]
	;; [unrolled: 1-line block ×3, first 2 shown]
	v_fmac_f64_e32 v[58:59], s[10:11], v[28:29]
	v_fmac_f64_e32 v[194:195], s[16:17], v[24:25]
	v_add_f64 v[32:33], v[32:33], v[36:37]
	v_fmac_f64_e32 v[58:59], s[2:3], v[24:25]
	v_fmac_f64_e32 v[194:195], s[12:13], v[32:33]
	;; [unrolled: 1-line block ×3, first 2 shown]
	v_add_f64 v[32:33], v[34:35], v[30:31]
	v_fmac_f64_e32 v[6:7], -0.5, v[32:33]
	v_fma_f64 v[198:199], s[10:11], v[24:25], v[6:7]
	v_add_f64 v[26:27], v[26:27], -v[34:35]
	v_add_f64 v[30:31], v[38:39], -v[30:31]
	v_fmac_f64_e32 v[6:7], s[14:15], v[24:25]
	v_fmac_f64_e32 v[198:199], s[16:17], v[28:29]
	v_add_f64 v[26:27], v[26:27], v[30:31]
	v_fmac_f64_e32 v[6:7], s[2:3], v[28:29]
	v_fmac_f64_e32 v[198:199], s[12:13], v[26:27]
	;; [unrolled: 1-line block ×3, first 2 shown]
	s_waitcnt lgkmcnt(1)
	v_add_f64 v[26:27], v[252:253], v[16:17]
	v_fma_f64 v[28:29], -0.5, v[26:27], v[0:1]
	s_waitcnt lgkmcnt(0)
	v_add_f64 v[26:27], v[14:15], -v[22:23]
	v_fma_f64 v[32:33], s[10:11], v[26:27], v[28:29]
	v_add_f64 v[30:31], v[254:255], -v[18:19]
	v_add_f64 v[34:35], v[12:13], -v[252:253]
	;; [unrolled: 1-line block ×3, first 2 shown]
	v_fmac_f64_e32 v[28:29], s[14:15], v[26:27]
	v_fmac_f64_e32 v[32:33], s[2:3], v[30:31]
	v_add_f64 v[34:35], v[34:35], v[36:37]
	v_fmac_f64_e32 v[28:29], s[16:17], v[30:31]
	v_fmac_f64_e32 v[32:33], s[12:13], v[34:35]
	;; [unrolled: 1-line block ×3, first 2 shown]
	v_add_f64 v[34:35], v[12:13], v[20:21]
	v_add_f64 v[24:25], v[0:1], v[12:13]
	v_fmac_f64_e32 v[0:1], -0.5, v[34:35]
	v_add_f64 v[24:25], v[24:25], v[252:253]
	v_fma_f64 v[36:37], s[14:15], v[30:31], v[0:1]
	v_add_f64 v[34:35], v[252:253], -v[12:13]
	v_add_f64 v[38:39], v[16:17], -v[20:21]
	v_fmac_f64_e32 v[0:1], s[10:11], v[30:31]
	v_add_f64 v[30:31], v[254:255], v[18:19]
	v_add_f64 v[24:25], v[24:25], v[16:17]
	v_fmac_f64_e32 v[36:37], s[2:3], v[26:27]
	v_add_f64 v[34:35], v[34:35], v[38:39]
	v_fmac_f64_e32 v[0:1], s[16:17], v[26:27]
	v_fma_f64 v[30:31], -0.5, v[30:31], v[2:3]
	v_add_f64 v[12:13], v[12:13], -v[20:21]
	v_add_f64 v[24:25], v[24:25], v[20:21]
	v_fmac_f64_e32 v[36:37], s[12:13], v[34:35]
	v_fmac_f64_e32 v[0:1], s[12:13], v[34:35]
	v_fma_f64 v[34:35], s[14:15], v[12:13], v[30:31]
	v_add_f64 v[16:17], v[252:253], -v[16:17]
	v_add_f64 v[20:21], v[14:15], -v[254:255]
	;; [unrolled: 1-line block ×3, first 2 shown]
	v_fmac_f64_e32 v[30:31], s[10:11], v[12:13]
	v_fmac_f64_e32 v[34:35], s[16:17], v[16:17]
	v_add_f64 v[20:21], v[20:21], v[38:39]
	v_fmac_f64_e32 v[30:31], s[2:3], v[16:17]
	v_fmac_f64_e32 v[34:35], s[12:13], v[20:21]
	;; [unrolled: 1-line block ×3, first 2 shown]
	v_add_f64 v[20:21], v[14:15], v[22:23]
	v_add_f64 v[26:27], v[2:3], v[14:15]
	v_fmac_f64_e32 v[2:3], -0.5, v[20:21]
	v_fma_f64 v[38:39], s[10:11], v[16:17], v[2:3]
	v_fmac_f64_e32 v[2:3], s[14:15], v[16:17]
	v_fmac_f64_e32 v[38:39], s[16:17], v[12:13]
	;; [unrolled: 1-line block ×3, first 2 shown]
	v_add_f64 v[12:13], v[244:245], v[248:249]
	v_add_f64 v[26:27], v[26:27], v[254:255]
	;; [unrolled: 1-line block ×4, first 2 shown]
	v_add_f64 v[14:15], v[254:255], -v[14:15]
	v_add_f64 v[18:19], v[18:19], -v[22:23]
	v_add_f64 v[12:13], v[12:13], v[228:229]
	v_add_f64 v[14:15], v[14:15], v[18:19]
	;; [unrolled: 1-line block ×4, first 2 shown]
	v_fmac_f64_e32 v[38:39], s[12:13], v[14:15]
	v_fmac_f64_e32 v[2:3], s[12:13], v[14:15]
	v_fma_f64 v[16:17], -0.5, v[12:13], v[244:245]
	v_add_f64 v[14:15], v[250:251], -v[226:227]
	v_add_f64 v[26:27], v[26:27], v[22:23]
	v_fma_f64 v[12:13], s[10:11], v[14:15], v[16:17]
	v_add_f64 v[18:19], v[242:243], -v[230:231]
	v_add_f64 v[20:21], v[248:249], -v[240:241]
	;; [unrolled: 1-line block ×3, first 2 shown]
	v_fmac_f64_e32 v[16:17], s[14:15], v[14:15]
	v_fmac_f64_e32 v[12:13], s[2:3], v[18:19]
	v_add_f64 v[20:21], v[20:21], v[22:23]
	v_fmac_f64_e32 v[16:17], s[16:17], v[18:19]
	v_fmac_f64_e32 v[12:13], s[12:13], v[20:21]
	;; [unrolled: 1-line block ×3, first 2 shown]
	v_add_f64 v[20:21], v[248:249], v[224:225]
	v_fmac_f64_e32 v[244:245], -0.5, v[20:21]
	v_fma_f64 v[20:21], s[14:15], v[18:19], v[244:245]
	v_fmac_f64_e32 v[244:245], s[10:11], v[18:19]
	v_fmac_f64_e32 v[20:21], s[2:3], v[14:15]
	;; [unrolled: 1-line block ×3, first 2 shown]
	v_add_f64 v[14:15], v[246:247], v[250:251]
	v_add_f64 v[14:15], v[14:15], v[242:243]
	;; [unrolled: 1-line block ×4, first 2 shown]
	v_fmac_f64_e32 v[196:197], s[12:13], v[72:73]
	v_fmac_f64_e32 v[4:5], s[12:13], v[72:73]
	v_add_f64 v[22:23], v[240:241], -v[248:249]
	v_add_f64 v[72:73], v[228:229], -v[224:225]
	v_add_f64 v[254:255], v[14:15], v[226:227]
	v_add_f64 v[14:15], v[242:243], v[230:231]
	;; [unrolled: 1-line block ×3, first 2 shown]
	v_fma_f64 v[18:19], -0.5, v[14:15], v[246:247]
	v_add_f64 v[72:73], v[248:249], -v[224:225]
	v_fmac_f64_e32 v[20:21], s[12:13], v[22:23]
	v_fmac_f64_e32 v[244:245], s[12:13], v[22:23]
	v_fma_f64 v[14:15], s[14:15], v[72:73], v[18:19]
	v_add_f64 v[78:79], v[240:241], -v[228:229]
	v_add_f64 v[22:23], v[250:251], -v[242:243]
	v_add_f64 v[224:225], v[226:227], -v[230:231]
	v_fmac_f64_e32 v[18:19], s[10:11], v[72:73]
	v_fmac_f64_e32 v[14:15], s[16:17], v[78:79]
	v_add_f64 v[22:23], v[22:23], v[224:225]
	v_fmac_f64_e32 v[18:19], s[2:3], v[78:79]
	v_fmac_f64_e32 v[14:15], s[12:13], v[22:23]
	;; [unrolled: 1-line block ×3, first 2 shown]
	v_add_f64 v[22:23], v[250:251], v[226:227]
	v_fmac_f64_e32 v[246:247], -0.5, v[22:23]
	v_fma_f64 v[22:23], s[10:11], v[78:79], v[246:247]
	v_add_f64 v[224:225], v[242:243], -v[250:251]
	v_add_f64 v[226:227], v[230:231], -v[226:227]
	v_fmac_f64_e32 v[246:247], s[14:15], v[78:79]
	v_fmac_f64_e32 v[22:23], s[16:17], v[72:73]
	v_add_f64 v[224:225], v[224:225], v[226:227]
	v_fmac_f64_e32 v[246:247], s[2:3], v[72:73]
	v_fmac_f64_e32 v[22:23], s[12:13], v[224:225]
	;; [unrolled: 1-line block ×3, first 2 shown]
	s_barrier
	ds_write_b128 v66, v[44:47]
	ds_write_b128 v66, v[48:51] offset:16
	ds_write_b128 v66, v[52:55] offset:32
	;; [unrolled: 1-line block ×4, first 2 shown]
	ds_write_b128 v67, v[60:63]
	ds_write_b128 v67, v[192:195] offset:16
	ds_write_b128 v67, v[196:199] offset:32
	;; [unrolled: 1-line block ×4, first 2 shown]
	v_accvgpr_read_b32 v4, a66
	ds_write_b128 v4, v[24:27]
	ds_write_b128 v4, v[32:35] offset:16
	ds_write_b128 v4, v[36:39] offset:32
	;; [unrolled: 1-line block ×4, first 2 shown]
	s_and_saveexec_b64 s[2:3], vcc
	s_cbranch_execz .LBB0_21
; %bb.20:
	v_accvgpr_read_b32 v0, a65
	v_accvgpr_read_b32 v1, a67
	v_lshl_add_u32 v0, v1, 4, v0
	ds_write_b128 v0, v[252:255]
	ds_write_b128 v0, v[12:15] offset:16
	ds_write_b128 v0, v[20:23] offset:32
	;; [unrolled: 1-line block ×4, first 2 shown]
.LBB0_21:
	s_or_b64 exec, exec, s[2:3]
	s_waitcnt lgkmcnt(0)
	s_barrier
	ds_read_b128 v[8:11], v92
	ds_read_b128 v[4:7], v92 offset:1200
	ds_read_b128 v[60:63], v92 offset:7680
	;; [unrolled: 1-line block ×14, first 2 shown]
	s_and_saveexec_b64 s[2:3], vcc
	s_cbranch_execz .LBB0_23
; %bb.22:
	ds_read_b128 v[252:255], v92 offset:3600
	ds_read_b128 v[12:15], v92 offset:7440
	;; [unrolled: 1-line block ×5, first 2 shown]
.LBB0_23:
	s_or_b64 exec, exec, s[2:3]
	v_accvgpr_read_b32 v64, a80
	v_accvgpr_read_b32 v66, a82
	;; [unrolled: 1-line block ×4, first 2 shown]
	s_waitcnt lgkmcnt(8)
	v_mul_f64 v[78:79], v[66:67], v[198:199]
	v_mul_f64 v[66:67], v[66:67], v[196:197]
	v_fmac_f64_e32 v[78:79], v[64:65], v[196:197]
	v_fma_f64 v[196:197], v[64:65], v[198:199], -v[66:67]
	v_accvgpr_read_b32 v64, a76
	v_accvgpr_read_b32 v66, a78
	;; [unrolled: 1-line block ×4, first 2 shown]
	v_mul_f64 v[198:199], v[66:67], v[62:63]
	v_fmac_f64_e32 v[198:199], v[64:65], v[60:61]
	v_mul_f64 v[60:61], v[66:67], v[60:61]
	v_fma_f64 v[224:225], v[64:65], v[62:63], -v[60:61]
	v_accvgpr_read_b32 v62, a72
	v_accvgpr_read_b32 v64, a74
	v_accvgpr_read_b32 v65, a75
	v_accvgpr_read_b32 v63, a73
	s_waitcnt lgkmcnt(4)
	v_mul_f64 v[226:227], v[64:65], v[194:195]
	v_mul_f64 v[60:61], v[64:65], v[192:193]
	v_fmac_f64_e32 v[226:227], v[62:63], v[192:193]
	v_fma_f64 v[192:193], v[62:63], v[194:195], -v[60:61]
	v_accvgpr_read_b32 v60, a68
	v_accvgpr_read_b32 v62, a70
	;; [unrolled: 1-line block ×4, first 2 shown]
	v_mul_f64 v[194:195], v[62:63], v[54:55]
	v_fmac_f64_e32 v[194:195], v[60:61], v[52:53]
	v_mul_f64 v[52:53], v[62:63], v[52:53]
	v_fma_f64 v[228:229], v[60:61], v[54:55], -v[52:53]
	v_mul_f64 v[230:231], v[90:91], v[58:59]
	v_mul_f64 v[52:53], v[90:91], v[56:57]
	v_mul_f64 v[90:91], v[86:87], v[46:47]
	v_fmac_f64_e32 v[90:91], v[84:85], v[44:45]
	v_mul_f64 v[44:45], v[86:87], v[44:45]
	v_fma_f64 v[84:85], v[84:85], v[46:47], -v[44:45]
	s_waitcnt lgkmcnt(2)
	v_mul_f64 v[86:87], v[82:83], v[50:51]
	v_mul_f64 v[44:45], v[82:83], v[48:49]
	;; [unrolled: 1-line block ×3, first 2 shown]
	v_fmac_f64_e32 v[82:83], v[68:69], v[40:41]
	v_mul_f64 v[40:41], v[70:71], v[40:41]
	v_fma_f64 v[240:241], v[68:69], v[42:43], -v[40:41]
	v_mul_f64 v[40:41], v[122:123], v[14:15]
	v_fmac_f64_e32 v[40:41], v[120:121], v[12:13]
	v_mul_f64 v[12:13], v[122:123], v[12:13]
	v_fmac_f64_e32 v[86:87], v[80:81], v[48:49]
	v_fma_f64 v[48:49], v[120:121], v[14:15], -v[12:13]
	v_mul_f64 v[12:13], v[118:119], v[20:21]
	v_fma_f64 v[80:81], v[80:81], v[50:51], -v[44:45]
	v_fma_f64 v[50:51], v[116:117], v[22:23], -v[12:13]
	s_waitcnt lgkmcnt(1)
	v_mul_f64 v[12:13], v[114:115], v[244:245]
	v_fma_f64 v[72:73], v[88:89], v[58:59], -v[52:53]
	v_fma_f64 v[52:53], v[112:113], v[246:247], -v[12:13]
	s_waitcnt lgkmcnt(0)
	v_mul_f64 v[12:13], v[110:111], v[16:17]
	v_fma_f64 v[54:55], v[108:109], v[18:19], -v[12:13]
	v_add_f64 v[12:13], v[8:9], v[78:79]
	v_add_f64 v[12:13], v[12:13], v[198:199]
	v_mul_f64 v[46:47], v[110:111], v[18:19]
	v_add_f64 v[12:13], v[12:13], v[226:227]
	v_mul_f64 v[70:71], v[76:77], v[26:27]
	v_fmac_f64_e32 v[46:47], v[108:109], v[16:17]
	v_add_f64 v[16:17], v[12:13], v[194:195]
	v_add_f64 v[12:13], v[198:199], v[226:227]
	s_mov_b32 s14, 0x134454ff
	v_fmac_f64_e32 v[70:71], v[74:75], v[24:25]
	v_mul_f64 v[24:25], v[76:77], v[24:25]
	v_mul_f64 v[42:43], v[118:119], v[22:23]
	v_fma_f64 v[12:13], -0.5, v[12:13], v[8:9]
	v_add_f64 v[14:15], v[196:197], -v[228:229]
	s_mov_b32 s15, 0xbfee6f0e
	s_mov_b32 s16, 0x4755a5e
	;; [unrolled: 1-line block ×4, first 2 shown]
	v_fma_f64 v[62:63], v[74:75], v[26:27], -v[24:25]
	v_fmac_f64_e32 v[42:43], v[116:117], v[20:21]
	v_fma_f64 v[20:21], s[14:15], v[14:15], v[12:13]
	v_add_f64 v[18:19], v[224:225], -v[192:193]
	s_mov_b32 s17, 0xbfe2cf23
	v_add_f64 v[22:23], v[78:79], -v[198:199]
	v_add_f64 v[24:25], v[194:195], -v[226:227]
	s_mov_b32 s2, 0x372fe950
	v_fmac_f64_e32 v[12:13], s[10:11], v[14:15]
	s_mov_b32 s13, 0x3fe2cf23
	s_mov_b32 s12, s16
	v_fmac_f64_e32 v[20:21], s[16:17], v[18:19]
	v_add_f64 v[22:23], v[22:23], v[24:25]
	s_mov_b32 s3, 0x3fd3c6ef
	v_fmac_f64_e32 v[12:13], s[12:13], v[18:19]
	v_fmac_f64_e32 v[20:21], s[2:3], v[22:23]
	;; [unrolled: 1-line block ×3, first 2 shown]
	v_add_f64 v[22:23], v[78:79], v[194:195]
	v_fmac_f64_e32 v[8:9], -0.5, v[22:23]
	v_fma_f64 v[24:25], s[10:11], v[18:19], v[8:9]
	v_fmac_f64_e32 v[8:9], s[14:15], v[18:19]
	v_fmac_f64_e32 v[24:25], s[16:17], v[14:15]
	v_fmac_f64_e32 v[8:9], s[12:13], v[14:15]
	v_add_f64 v[14:15], v[10:11], v[196:197]
	v_add_f64 v[14:15], v[14:15], v[224:225]
	v_mul_f64 v[68:69], v[98:99], v[30:31]
	v_add_f64 v[14:15], v[14:15], v[192:193]
	v_mul_f64 v[66:67], v[102:103], v[34:35]
	v_fmac_f64_e32 v[68:69], v[96:97], v[28:29]
	v_mul_f64 v[28:29], v[98:99], v[28:29]
	v_add_f64 v[22:23], v[198:199], -v[78:79]
	v_add_f64 v[26:27], v[226:227], -v[194:195]
	v_add_f64 v[18:19], v[14:15], v[228:229]
	v_add_f64 v[14:15], v[224:225], v[192:193]
	v_fmac_f64_e32 v[66:67], v[100:101], v[32:33]
	v_mul_f64 v[32:33], v[102:103], v[32:33]
	v_fma_f64 v[60:61], v[96:97], v[30:31], -v[28:29]
	v_add_f64 v[22:23], v[22:23], v[26:27]
	v_fma_f64 v[14:15], -0.5, v[14:15], v[10:11]
	v_add_f64 v[28:29], v[78:79], -v[194:195]
	v_fma_f64 v[58:59], v[100:101], v[34:35], -v[32:33]
	v_fmac_f64_e32 v[24:25], s[2:3], v[22:23]
	v_fmac_f64_e32 v[8:9], s[2:3], v[22:23]
	v_fma_f64 v[22:23], s[10:11], v[28:29], v[14:15]
	v_add_f64 v[30:31], v[198:199], -v[226:227]
	v_add_f64 v[26:27], v[196:197], -v[224:225]
	;; [unrolled: 1-line block ×3, first 2 shown]
	v_fmac_f64_e32 v[14:15], s[14:15], v[28:29]
	v_fmac_f64_e32 v[22:23], s[12:13], v[30:31]
	v_add_f64 v[26:27], v[26:27], v[32:33]
	v_fmac_f64_e32 v[14:15], s[16:17], v[30:31]
	v_fmac_f64_e32 v[22:23], s[2:3], v[26:27]
	;; [unrolled: 1-line block ×3, first 2 shown]
	v_add_f64 v[26:27], v[196:197], v[228:229]
	v_fmac_f64_e32 v[10:11], -0.5, v[26:27]
	v_fmac_f64_e32 v[230:231], v[88:89], v[56:57]
	v_fma_f64 v[26:27], s[14:15], v[30:31], v[10:11]
	v_fmac_f64_e32 v[10:11], s[10:11], v[30:31]
	v_fmac_f64_e32 v[26:27], s[12:13], v[28:29]
	;; [unrolled: 1-line block ×3, first 2 shown]
	v_add_f64 v[28:29], v[4:5], v[230:231]
	v_add_f64 v[32:33], v[224:225], -v[196:197]
	v_add_f64 v[34:35], v[192:193], -v[228:229]
	v_add_f64 v[28:29], v[28:29], v[90:91]
	v_add_f64 v[32:33], v[32:33], v[34:35]
	;; [unrolled: 1-line block ×3, first 2 shown]
	v_mul_f64 v[64:65], v[106:107], v[38:39]
	v_fmac_f64_e32 v[26:27], s[2:3], v[32:33]
	v_fmac_f64_e32 v[10:11], s[2:3], v[32:33]
	v_add_f64 v[32:33], v[28:29], v[82:83]
	v_add_f64 v[28:29], v[90:91], v[86:87]
	v_fmac_f64_e32 v[64:65], v[104:105], v[36:37]
	v_mul_f64 v[36:37], v[106:107], v[36:37]
	v_fma_f64 v[28:29], -0.5, v[28:29], v[4:5]
	v_add_f64 v[30:31], v[72:73], -v[240:241]
	v_fma_f64 v[56:57], v[104:105], v[38:39], -v[36:37]
	v_fma_f64 v[36:37], s[14:15], v[30:31], v[28:29]
	v_add_f64 v[34:35], v[84:85], -v[80:81]
	v_add_f64 v[38:39], v[230:231], -v[90:91]
	;; [unrolled: 1-line block ×3, first 2 shown]
	v_fmac_f64_e32 v[28:29], s[10:11], v[30:31]
	v_fmac_f64_e32 v[36:37], s[16:17], v[34:35]
	v_add_f64 v[38:39], v[38:39], v[74:75]
	v_fmac_f64_e32 v[28:29], s[12:13], v[34:35]
	v_fmac_f64_e32 v[36:37], s[2:3], v[38:39]
	;; [unrolled: 1-line block ×3, first 2 shown]
	v_add_f64 v[38:39], v[230:231], v[82:83]
	v_fmac_f64_e32 v[4:5], -0.5, v[38:39]
	v_fma_f64 v[88:89], s[10:11], v[34:35], v[4:5]
	v_fmac_f64_e32 v[4:5], s[14:15], v[34:35]
	v_fmac_f64_e32 v[88:89], s[16:17], v[30:31]
	;; [unrolled: 1-line block ×3, first 2 shown]
	v_add_f64 v[30:31], v[6:7], v[72:73]
	v_add_f64 v[30:31], v[30:31], v[84:85]
	;; [unrolled: 1-line block ×3, first 2 shown]
	v_add_f64 v[38:39], v[90:91], -v[230:231]
	v_add_f64 v[74:75], v[86:87], -v[82:83]
	v_add_f64 v[34:35], v[30:31], v[240:241]
	v_add_f64 v[30:31], v[84:85], v[80:81]
	v_add_f64 v[38:39], v[38:39], v[74:75]
	v_fma_f64 v[30:31], -0.5, v[30:31], v[6:7]
	v_add_f64 v[74:75], v[230:231], -v[82:83]
	v_fmac_f64_e32 v[88:89], s[2:3], v[38:39]
	v_fmac_f64_e32 v[4:5], s[2:3], v[38:39]
	v_fma_f64 v[38:39], s[10:11], v[74:75], v[30:31]
	v_add_f64 v[76:77], v[90:91], -v[86:87]
	v_add_f64 v[78:79], v[72:73], -v[84:85]
	;; [unrolled: 1-line block ×3, first 2 shown]
	v_fmac_f64_e32 v[30:31], s[14:15], v[74:75]
	v_fmac_f64_e32 v[38:39], s[12:13], v[76:77]
	v_add_f64 v[78:79], v[78:79], v[82:83]
	v_fmac_f64_e32 v[30:31], s[16:17], v[76:77]
	v_fmac_f64_e32 v[38:39], s[2:3], v[78:79]
	;; [unrolled: 1-line block ×3, first 2 shown]
	v_add_f64 v[78:79], v[72:73], v[240:241]
	v_fmac_f64_e32 v[6:7], -0.5, v[78:79]
	v_fma_f64 v[90:91], s[14:15], v[76:77], v[6:7]
	v_add_f64 v[72:73], v[84:85], -v[72:73]
	v_add_f64 v[78:79], v[80:81], -v[240:241]
	v_fmac_f64_e32 v[6:7], s[10:11], v[76:77]
	v_fmac_f64_e32 v[90:91], s[12:13], v[74:75]
	v_add_f64 v[72:73], v[72:73], v[78:79]
	v_fmac_f64_e32 v[6:7], s[16:17], v[74:75]
	v_fmac_f64_e32 v[90:91], s[2:3], v[72:73]
	;; [unrolled: 1-line block ×3, first 2 shown]
	v_add_f64 v[72:73], v[0:1], v[64:65]
	v_add_f64 v[72:73], v[72:73], v[66:67]
	v_add_f64 v[72:73], v[72:73], v[68:69]
	v_add_f64 v[96:97], v[72:73], v[70:71]
	v_add_f64 v[72:73], v[66:67], v[68:69]
	v_fma_f64 v[100:101], -0.5, v[72:73], v[0:1]
	v_add_f64 v[72:73], v[56:57], -v[62:63]
	v_fma_f64 v[104:105], s[14:15], v[72:73], v[100:101]
	v_add_f64 v[74:75], v[58:59], -v[60:61]
	v_add_f64 v[76:77], v[64:65], -v[66:67]
	;; [unrolled: 1-line block ×3, first 2 shown]
	v_fmac_f64_e32 v[100:101], s[10:11], v[72:73]
	v_fmac_f64_e32 v[104:105], s[16:17], v[74:75]
	v_add_f64 v[76:77], v[76:77], v[78:79]
	v_fmac_f64_e32 v[100:101], s[12:13], v[74:75]
	v_fmac_f64_e32 v[104:105], s[2:3], v[76:77]
	;; [unrolled: 1-line block ×3, first 2 shown]
	v_add_f64 v[76:77], v[64:65], v[70:71]
	v_fmac_f64_e32 v[0:1], -0.5, v[76:77]
	v_fma_f64 v[108:109], s[10:11], v[74:75], v[0:1]
	v_fmac_f64_e32 v[0:1], s[14:15], v[74:75]
	v_fmac_f64_e32 v[108:109], s[16:17], v[72:73]
	;; [unrolled: 1-line block ×3, first 2 shown]
	v_add_f64 v[72:73], v[2:3], v[56:57]
	v_add_f64 v[72:73], v[72:73], v[58:59]
	v_add_f64 v[72:73], v[72:73], v[60:61]
	v_add_f64 v[98:99], v[72:73], v[62:63]
	v_add_f64 v[72:73], v[58:59], v[60:61]
	v_add_f64 v[76:77], v[66:67], -v[64:65]
	v_fma_f64 v[102:103], -0.5, v[72:73], v[2:3]
	v_add_f64 v[64:65], v[64:65], -v[70:71]
	v_add_f64 v[78:79], v[68:69], -v[70:71]
	v_fma_f64 v[106:107], s[10:11], v[64:65], v[102:103]
	v_add_f64 v[66:67], v[66:67], -v[68:69]
	v_add_f64 v[68:69], v[56:57], -v[58:59]
	;; [unrolled: 1-line block ×3, first 2 shown]
	v_fmac_f64_e32 v[102:103], s[14:15], v[64:65]
	v_mul_f64 v[44:45], v[114:115], v[246:247]
	v_fmac_f64_e32 v[106:107], s[12:13], v[66:67]
	v_add_f64 v[68:69], v[68:69], v[70:71]
	v_fmac_f64_e32 v[102:103], s[16:17], v[66:67]
	v_fmac_f64_e32 v[44:45], v[112:113], v[244:245]
	v_fmac_f64_e32 v[106:107], s[2:3], v[68:69]
	v_fmac_f64_e32 v[102:103], s[2:3], v[68:69]
	v_add_f64 v[68:69], v[56:57], v[62:63]
	v_add_f64 v[56:57], v[58:59], -v[56:57]
	v_add_f64 v[58:59], v[60:61], -v[62:63]
	v_fmac_f64_e32 v[2:3], -0.5, v[68:69]
	v_add_f64 v[56:57], v[56:57], v[58:59]
	v_add_f64 v[58:59], v[40:41], -v[42:43]
	v_add_f64 v[62:63], v[46:47], -v[44:45]
	v_add_f64 v[76:77], v[76:77], v[78:79]
	v_fma_f64 v[110:111], s[14:15], v[66:67], v[2:3]
	v_fmac_f64_e32 v[2:3], s[10:11], v[66:67]
	v_add_f64 v[74:75], v[58:59], v[62:63]
	v_add_f64 v[62:63], v[42:43], -v[40:41]
	v_add_f64 v[66:67], v[44:45], -v[46:47]
	v_fmac_f64_e32 v[108:109], s[2:3], v[76:77]
	v_fmac_f64_e32 v[0:1], s[2:3], v[76:77]
	;; [unrolled: 1-line block ×4, first 2 shown]
	v_add_f64 v[76:77], v[62:63], v[66:67]
	v_add_f64 v[66:67], v[48:49], -v[50:51]
	v_add_f64 v[82:83], v[54:55], -v[52:53]
	v_fmac_f64_e32 v[110:111], s[2:3], v[56:57]
	v_fmac_f64_e32 v[2:3], s[2:3], v[56:57]
	v_add_f64 v[56:57], v[42:43], v[44:45]
	v_add_f64 v[58:59], v[40:41], v[46:47]
	;; [unrolled: 1-line block ×5, first 2 shown]
	v_fma_f64 v[56:57], -0.5, v[56:57], v[252:253]
	v_add_f64 v[68:69], v[48:49], -v[54:55]
	v_add_f64 v[70:71], v[50:51], -v[52:53]
	v_fma_f64 v[58:59], -0.5, v[58:59], v[252:253]
	v_fma_f64 v[72:73], -0.5, v[62:63], v[254:255]
	v_add_f64 v[78:79], v[40:41], -v[46:47]
	v_add_f64 v[80:81], v[42:43], -v[44:45]
	v_fma_f64 v[82:83], -0.5, v[66:67], v[254:255]
	v_fma_f64 v[60:61], s[14:15], v[68:69], v[56:57]
	v_fma_f64 v[64:65], s[10:11], v[70:71], v[58:59]
	v_fma_f64 v[62:63], s[10:11], v[78:79], v[72:73]
	v_fma_f64 v[66:67], s[14:15], v[80:81], v[82:83]
	v_add_f64 v[86:87], v[50:51], -v[48:49]
	v_add_f64 v[112:113], v[52:53], -v[54:55]
	v_fmac_f64_e32 v[60:61], s[16:17], v[70:71]
	v_fmac_f64_e32 v[64:65], s[16:17], v[68:69]
	;; [unrolled: 1-line block ×4, first 2 shown]
	v_add_f64 v[86:87], v[86:87], v[112:113]
	v_accvgpr_read_b32 v112, a85
	v_fmac_f64_e32 v[60:61], s[2:3], v[74:75]
	v_fmac_f64_e32 v[64:65], s[2:3], v[76:77]
	;; [unrolled: 1-line block ×4, first 2 shown]
	s_barrier
	ds_write_b128 v112, v[16:19]
	ds_write_b128 v112, v[20:23] offset:80
	ds_write_b128 v112, v[24:27] offset:160
	ds_write_b128 v112, v[8:11] offset:240
	ds_write_b128 v112, v[12:15] offset:320
	v_accvgpr_read_b32 v8, a86
	ds_write_b128 v8, v[32:35]
	ds_write_b128 v8, v[36:39] offset:80
	ds_write_b128 v8, v[88:91] offset:160
	;; [unrolled: 1-line block ×4, first 2 shown]
	ds_write_b128 v93, v[96:99]
	ds_write_b128 v93, v[104:107] offset:80
	ds_write_b128 v93, v[108:111] offset:160
	;; [unrolled: 1-line block ×4, first 2 shown]
	s_and_saveexec_b64 s[14:15], vcc
	s_cbranch_execz .LBB0_25
; %bb.24:
	v_mul_f64 v[4:5], v[68:69], s[10:11]
	v_mul_f64 v[6:7], v[78:79], s[10:11]
	;; [unrolled: 1-line block ×4, first 2 shown]
	v_add_f64 v[6:7], v[72:73], -v[6:7]
	v_add_f64 v[4:5], v[56:57], v[4:5]
	v_add_f64 v[6:7], v[6:7], -v[10:11]
	v_add_f64 v[10:11], v[254:255], v[48:49]
	v_add_f64 v[4:5], v[8:9], v[4:5]
	;; [unrolled: 1-line block ×3, first 2 shown]
	v_mul_f64 v[12:13], v[74:75], s[2:3]
	v_mul_f64 v[0:1], v[70:71], s[10:11]
	;; [unrolled: 1-line block ×3, first 2 shown]
	v_add_f64 v[10:11], v[10:11], v[50:51]
	v_add_f64 v[8:9], v[8:9], v[42:43]
	v_mul_f64 v[14:15], v[68:69], s[12:13]
	v_mul_f64 v[20:21], v[78:79], s[12:13]
	v_add_f64 v[2:3], v[2:3], v[82:83]
	v_add_f64 v[10:11], v[10:11], v[52:53]
	v_add_f64 v[0:1], v[58:59], -v[0:1]
	v_add_f64 v[4:5], v[12:13], v[4:5]
	v_add_f64 v[8:9], v[8:9], v[44:45]
	v_accvgpr_read_b32 v12, a65
	v_accvgpr_read_b32 v13, a84
	v_mul_f64 v[16:17], v[76:77], s[2:3]
	v_mul_f64 v[18:19], v[84:85], s[2:3]
	;; [unrolled: 1-line block ×3, first 2 shown]
	v_add_f64 v[2:3], v[2:3], -v[20:21]
	v_add_f64 v[10:11], v[10:11], v[54:55]
	v_add_f64 v[0:1], v[14:15], v[0:1]
	;; [unrolled: 1-line block ×3, first 2 shown]
	v_lshl_add_u32 v12, v13, 4, v12
	v_add_f64 v[2:3], v[22:23], v[2:3]
	v_add_f64 v[6:7], v[18:19], v[6:7]
	;; [unrolled: 1-line block ×3, first 2 shown]
	ds_write_b128 v12, v[8:11]
	ds_write_b128 v12, v[60:63] offset:80
	ds_write_b128 v12, v[64:67] offset:160
	;; [unrolled: 1-line block ×4, first 2 shown]
.LBB0_25:
	s_or_b64 exec, exec, s[14:15]
	s_waitcnt lgkmcnt(0)
	s_barrier
	ds_read_b128 v[0:3], v92
	ds_read_b128 v[4:7], v92 offset:1200
	ds_read_b128 v[8:11], v92 offset:2400
	;; [unrolled: 1-line block ×15, first 2 shown]
	s_waitcnt lgkmcnt(14)
	v_mul_f64 v[72:73], v[150:151], v[6:7]
	v_fmac_f64_e32 v[72:73], v[148:149], v[4:5]
	v_mul_f64 v[4:5], v[150:151], v[4:5]
	v_fma_f64 v[4:5], v[148:149], v[6:7], -v[4:5]
	s_waitcnt lgkmcnt(13)
	v_mul_f64 v[6:7], v[134:135], v[10:11]
	v_fmac_f64_e32 v[6:7], v[132:133], v[8:9]
	v_mul_f64 v[8:9], v[134:135], v[8:9]
	v_fma_f64 v[8:9], v[132:133], v[10:11], -v[8:9]
	;; [unrolled: 5-line block ×15, first 2 shown]
	v_add_f64 v[30:31], v[0:1], -v[30:31]
	v_add_f64 v[48:49], v[16:17], -v[48:49]
	;; [unrolled: 1-line block ×8, first 2 shown]
	s_mov_b32 s2, 0x667f3bcd
	v_add_f64 v[32:33], v[2:3], -v[32:33]
	v_add_f64 v[46:47], v[14:15], -v[46:47]
	v_fma_f64 v[16:17], v[16:17], 2.0, -v[48:49]
	v_add_f64 v[40:41], v[8:9], -v[40:41]
	v_add_f64 v[54:55], v[22:23], -v[54:55]
	v_fma_f64 v[24:25], v[24:25], 2.0, -v[56:57]
	v_fma_f64 v[70:71], v[72:73], 2.0, -v[34:35]
	v_add_f64 v[52:53], v[20:21], -v[52:53]
	v_fma_f64 v[18:19], v[18:19], 2.0, -v[50:51]
	v_fma_f64 v[10:11], v[10:11], 2.0, -v[42:43]
	v_add_f64 v[68:69], v[28:29], -v[68:69]
	v_fma_f64 v[26:27], v[26:27], 2.0, -v[58:59]
	v_add_f64 v[48:49], v[30:31], v[48:49]
	v_add_f64 v[56:57], v[38:39], v[56:57]
	s_mov_b32 s3, 0xbfe6a09e
	s_mov_b32 s11, 0x3fe6a09e
	;; [unrolled: 1-line block ×3, first 2 shown]
	v_fma_f64 v[0:1], v[0:1], 2.0, -v[30:31]
	v_fma_f64 v[14:15], v[14:15], 2.0, -v[46:47]
	v_fma_f64 v[6:7], v[6:7], 2.0, -v[38:39]
	v_fma_f64 v[22:23], v[22:23], 2.0, -v[54:55]
	v_add_f64 v[36:37], v[4:5], -v[36:37]
	v_fma_f64 v[20:21], v[20:21], 2.0, -v[52:53]
	v_add_f64 v[44:45], v[12:13], -v[44:45]
	v_fma_f64 v[28:29], v[28:29], 2.0, -v[68:69]
	;; [unrolled: 2-line block ×4, first 2 shown]
	v_add_f64 v[18:19], v[70:71], -v[18:19]
	v_add_f64 v[52:53], v[34:35], v[52:53]
	v_add_f64 v[26:27], v[10:11], -v[26:27]
	v_add_f64 v[68:69], v[42:43], v[68:69]
	v_fma_f64 v[84:85], s[10:11], v[56:57], v[48:49]
	v_fma_f64 v[2:3], v[2:3], 2.0, -v[32:33]
	v_fma_f64 v[8:9], v[8:9], 2.0, -v[40:41]
	v_add_f64 v[14:15], v[0:1], -v[14:15]
	v_fma_f64 v[32:33], v[32:33], 2.0, -v[46:47]
	v_add_f64 v[22:23], v[6:7], -v[22:23]
	v_fma_f64 v[40:41], v[40:41], 2.0, -v[54:55]
	v_fma_f64 v[70:71], v[70:71], 2.0, -v[18:19]
	v_add_f64 v[50:51], v[36:37], -v[50:51]
	v_fma_f64 v[34:35], v[34:35], 2.0, -v[52:53]
	;; [unrolled: 3-line block ×3, first 2 shown]
	v_fma_f64 v[76:77], s[2:3], v[38:39], v[30:31]
	v_fma_f64 v[86:87], s[10:11], v[54:55], v[46:47]
	v_fmac_f64_e32 v[84:85], s[10:11], v[54:55]
	v_fma_f64 v[4:5], v[4:5], 2.0, -v[36:37]
	v_fma_f64 v[12:13], v[12:13], 2.0, -v[44:45]
	v_add_f64 v[16:17], v[2:3], -v[16:17]
	v_fma_f64 v[0:1], v[0:1], 2.0, -v[14:15]
	v_fma_f64 v[6:7], v[6:7], 2.0, -v[22:23]
	;; [unrolled: 1-line block ×4, first 2 shown]
	v_fma_f64 v[78:79], s[2:3], v[40:41], v[32:33]
	v_fmac_f64_e32 v[76:77], s[10:11], v[40:41]
	v_fmac_f64_e32 v[86:87], s[2:3], v[56:57]
	v_fma_f64 v[40:41], v[48:49], 2.0, -v[84:85]
	v_add_f64 v[48:49], v[70:71], -v[10:11]
	v_fma_f64 v[56:57], s[2:3], v[42:43], v[34:35]
	v_add_f64 v[20:21], v[4:5], -v[20:21]
	v_add_f64 v[28:29], v[12:13], -v[28:29]
	;; [unrolled: 1-line block ×4, first 2 shown]
	v_fma_f64 v[6:7], v[70:71], 2.0, -v[48:49]
	v_fma_f64 v[70:71], s[2:3], v[44:45], v[36:37]
	v_fmac_f64_e32 v[56:57], s[10:11], v[44:45]
	s_mov_b32 s14, 0xcf328d46
	v_fma_f64 v[2:3], v[2:3], 2.0, -v[16:17]
	v_add_f64 v[24:25], v[8:9], -v[24:25]
	v_fma_f64 v[4:5], v[4:5], 2.0, -v[20:21]
	v_fma_f64 v[12:13], v[12:13], 2.0, -v[28:29]
	v_fmac_f64_e32 v[78:79], s[2:3], v[38:39]
	v_fma_f64 v[30:31], v[30:31], 2.0, -v[76:77]
	v_fma_f64 v[38:39], v[16:17], 2.0, -v[82:83]
	v_fmac_f64_e32 v[70:71], s[2:3], v[42:43]
	v_fma_f64 v[16:17], v[34:35], 2.0, -v[56:57]
	v_fma_f64 v[98:99], s[10:11], v[58:59], v[50:51]
	s_mov_b32 s15, 0xbfed906b
	s_mov_b32 s12, 0xa6aea964
	v_fma_f64 v[8:9], v[8:9], 2.0, -v[24:25]
	v_fma_f64 v[32:33], v[32:33], 2.0, -v[78:79]
	v_add_f64 v[80:81], v[14:15], v[24:25]
	v_add_f64 v[54:55], v[4:5], -v[12:13]
	v_fma_f64 v[22:23], v[36:37], 2.0, -v[70:71]
	v_add_f64 v[88:89], v[18:19], v[28:29]
	v_fma_f64 v[96:97], s[10:11], v[68:69], v[52:53]
	v_fmac_f64_e32 v[98:99], s[2:3], v[68:69]
	v_fma_f64 v[12:13], s[14:15], v[16:17], v[30:31]
	s_mov_b32 s13, 0x3fd87de2
	v_add_f64 v[74:75], v[2:3], -v[8:9]
	v_fma_f64 v[24:25], v[14:15], 2.0, -v[80:81]
	v_fma_f64 v[46:47], v[46:47], 2.0, -v[86:87]
	v_add_f64 v[90:91], v[20:21], -v[26:27]
	v_fma_f64 v[26:27], v[18:19], 2.0, -v[88:89]
	v_fmac_f64_e32 v[96:97], s[10:11], v[58:59]
	v_fma_f64 v[36:37], v[50:51], 2.0, -v[98:99]
	v_fma_f64 v[14:15], s[14:15], v[22:23], v[32:33]
	v_fmac_f64_e32 v[12:13], s[12:13], v[22:23]
	s_mov_b32 s17, 0xbfd87de2
	s_mov_b32 s16, s12
	v_fma_f64 v[0:1], v[0:1], 2.0, -v[72:73]
	v_fma_f64 v[2:3], v[2:3], 2.0, -v[74:75]
	;; [unrolled: 1-line block ×5, first 2 shown]
	v_fmac_f64_e32 v[14:15], s[16:17], v[16:17]
	v_fma_f64 v[16:17], v[30:31], 2.0, -v[12:13]
	v_fma_f64 v[20:21], s[2:3], v[26:27], v[24:25]
	v_fma_f64 v[30:31], s[16:17], v[36:37], v[46:47]
	v_add_f64 v[4:5], v[0:1], -v[6:7]
	v_add_f64 v[6:7], v[2:3], -v[8:9]
	v_fma_f64 v[22:23], s[2:3], v[28:29], v[38:39]
	v_fmac_f64_e32 v[20:21], s[10:11], v[28:29]
	v_fma_f64 v[28:29], s[16:17], v[34:35], v[40:41]
	s_mov_b32 s19, 0x3fed906b
	s_mov_b32 s18, s14
	v_fmac_f64_e32 v[30:31], s[14:15], v[34:35]
	v_fma_f64 v[8:9], v[0:1], 2.0, -v[4:5]
	v_fma_f64 v[10:11], v[2:3], 2.0, -v[6:7]
	v_fmac_f64_e32 v[22:23], s[2:3], v[26:27]
	v_fmac_f64_e32 v[28:29], s[18:19], v[36:37]
	v_fma_f64 v[34:35], v[46:47], 2.0, -v[30:31]
	v_add_f64 v[36:37], v[72:73], v[54:55]
	v_fma_f64 v[44:45], s[12:13], v[56:57], v[76:77]
	v_fma_f64 v[46:47], s[12:13], v[70:71], v[78:79]
	;; [unrolled: 1-line block ×6, first 2 shown]
	v_fma_f64 v[26:27], v[38:39], 2.0, -v[22:23]
	v_add_f64 v[38:39], v[74:75], -v[48:49]
	v_fmac_f64_e32 v[44:45], s[18:19], v[70:71]
	v_fmac_f64_e32 v[46:47], s[14:15], v[56:57]
	;; [unrolled: 1-line block ×6, first 2 shown]
	v_fma_f64 v[18:19], v[32:33], 2.0, -v[14:15]
	v_fma_f64 v[24:25], v[24:25], 2.0, -v[20:21]
	v_fma_f64 v[32:33], v[40:41], 2.0, -v[28:29]
	v_fma_f64 v[40:41], v[72:73], 2.0, -v[36:37]
	v_fma_f64 v[42:43], v[74:75], 2.0, -v[38:39]
	v_fma_f64 v[48:49], v[76:77], 2.0, -v[44:45]
	v_fma_f64 v[50:51], v[78:79], 2.0, -v[46:47]
	v_fma_f64 v[56:57], v[80:81], 2.0, -v[52:53]
	v_fma_f64 v[58:59], v[82:83], 2.0, -v[54:55]
	v_fma_f64 v[68:69], v[84:85], 2.0, -v[0:1]
	v_fma_f64 v[70:71], v[86:87], 2.0, -v[2:3]
	s_barrier
	ds_write_b128 v94, v[8:11]
	ds_write_b128 v94, v[16:19] offset:400
	ds_write_b128 v94, v[24:27] offset:800
	;; [unrolled: 1-line block ×15, first 2 shown]
	s_waitcnt lgkmcnt(0)
	s_barrier
	ds_read_b128 v[20:23], v92
	ds_read_b128 v[16:19], v92 offset:1200
	ds_read_b128 v[56:59], v92 offset:12800
	;; [unrolled: 1-line block ×14, first 2 shown]
	v_add_u32_e32 v74, 0x960, v92
	v_add_u32_e32 v73, 0xe10, v92
	;; [unrolled: 1-line block ×3, first 2 shown]
	s_and_saveexec_b64 s[2:3], s[0:1]
	s_cbranch_execz .LBB0_27
; %bb.26:
	ds_read_b128 v[0:3], v92 offset:6000
	ds_read_b128 v[60:63], v92 offset:12400
	;; [unrolled: 1-line block ×3, first 2 shown]
.LBB0_27:
	s_or_b64 exec, exec, s[2:3]
	s_waitcnt lgkmcnt(4)
	v_mul_f64 v[76:77], v[186:187], v[70:71]
	v_fmac_f64_e32 v[76:77], v[184:185], v[68:69]
	v_mul_f64 v[68:69], v[186:187], v[68:69]
	v_fma_f64 v[68:69], v[184:185], v[70:71], -v[68:69]
	v_mul_f64 v[70:71], v[190:191], v[58:59]
	v_fmac_f64_e32 v[70:71], v[188:189], v[56:57]
	v_mul_f64 v[56:57], v[190:191], v[56:57]
	v_fma_f64 v[56:57], v[188:189], v[58:59], -v[56:57]
	v_mul_f64 v[58:59], v[202:203], v[54:55]
	s_waitcnt lgkmcnt(0)
	v_mul_f64 v[98:99], v[238:239], v[26:27]
	v_fmac_f64_e32 v[58:59], v[200:201], v[52:53]
	v_mul_f64 v[52:53], v[202:203], v[52:53]
	v_mul_f64 v[90:91], v[234:235], v[30:31]
	v_fmac_f64_e32 v[98:99], v[236:237], v[24:25]
	v_mul_f64 v[24:25], v[238:239], v[24:25]
	v_fma_f64 v[52:53], v[200:201], v[54:55], -v[52:53]
	v_mul_f64 v[54:55], v[206:207], v[50:51]
	v_mul_f64 v[86:87], v[222:223], v[34:35]
	v_fmac_f64_e32 v[90:91], v[232:233], v[28:29]
	v_mul_f64 v[28:29], v[234:235], v[28:29]
	v_fma_f64 v[100:101], v[236:237], v[26:27], -v[24:25]
	v_add_f64 v[26:27], v[76:77], v[70:71]
	s_mov_b32 s2, 0xe8584caa
	v_fmac_f64_e32 v[54:55], v[204:205], v[48:49]
	v_mul_f64 v[48:49], v[206:207], v[48:49]
	v_mul_f64 v[78:79], v[214:215], v[38:39]
	v_fmac_f64_e32 v[86:87], v[220:221], v[32:33]
	v_mul_f64 v[32:33], v[222:223], v[32:33]
	v_fma_f64 v[96:97], v[232:233], v[30:31], -v[28:29]
	v_add_f64 v[24:25], v[20:21], v[76:77]
	v_fmac_f64_e32 v[20:21], -0.5, v[26:27]
	v_add_f64 v[26:27], v[68:69], -v[56:57]
	s_mov_b32 s3, 0xbfebb67a
	s_mov_b32 s11, 0x3febb67a
	;; [unrolled: 1-line block ×3, first 2 shown]
	v_add_f64 v[30:31], v[68:69], v[56:57]
	v_fma_f64 v[48:49], v[204:205], v[50:51], -v[48:49]
	v_mul_f64 v[50:51], v[210:211], v[46:47]
	v_fmac_f64_e32 v[78:79], v[212:213], v[36:37]
	v_mul_f64 v[36:37], v[214:215], v[36:37]
	v_fma_f64 v[88:89], v[220:221], v[34:35], -v[32:33]
	v_fma_f64 v[28:29], s[2:3], v[26:27], v[20:21]
	v_fmac_f64_e32 v[20:21], s[10:11], v[26:27]
	v_add_f64 v[26:27], v[22:23], v[68:69]
	v_fmac_f64_e32 v[22:23], -0.5, v[30:31]
	v_add_f64 v[32:33], v[76:77], -v[70:71]
	v_add_f64 v[34:35], v[58:59], v[54:55]
	v_fmac_f64_e32 v[50:51], v[208:209], v[44:45]
	v_mul_f64 v[44:45], v[210:211], v[44:45]
	v_fma_f64 v[80:81], v[212:213], v[38:39], -v[36:37]
	v_mul_f64 v[82:83], v[218:219], v[42:43]
	v_mul_f64 v[36:37], v[218:219], v[40:41]
	v_fma_f64 v[30:31], s[10:11], v[32:33], v[22:23]
	v_fmac_f64_e32 v[22:23], s[2:3], v[32:33]
	v_add_f64 v[32:33], v[16:17], v[58:59]
	v_fmac_f64_e32 v[16:17], -0.5, v[34:35]
	v_add_f64 v[34:35], v[52:53], -v[48:49]
	v_add_f64 v[38:39], v[52:53], v[48:49]
	v_fma_f64 v[46:47], v[208:209], v[46:47], -v[44:45]
	v_fmac_f64_e32 v[82:83], v[216:217], v[40:41]
	v_fma_f64 v[84:85], v[216:217], v[42:43], -v[36:37]
	v_fma_f64 v[36:37], s[2:3], v[34:35], v[16:17]
	v_fmac_f64_e32 v[16:17], s[10:11], v[34:35]
	v_add_f64 v[34:35], v[18:19], v[52:53]
	v_fmac_f64_e32 v[18:19], -0.5, v[38:39]
	v_add_f64 v[40:41], v[58:59], -v[54:55]
	v_add_f64 v[42:43], v[50:51], v[78:79]
	v_fma_f64 v[38:39], s[10:11], v[40:41], v[18:19]
	v_fmac_f64_e32 v[18:19], s[2:3], v[40:41]
	v_add_f64 v[40:41], v[12:13], v[50:51]
	v_fmac_f64_e32 v[12:13], -0.5, v[42:43]
	v_add_f64 v[42:43], v[46:47], -v[80:81]
	v_fma_f64 v[44:45], s[2:3], v[42:43], v[12:13]
	v_fmac_f64_e32 v[12:13], s[10:11], v[42:43]
	v_add_f64 v[42:43], v[14:15], v[46:47]
	v_add_f64 v[46:47], v[46:47], v[80:81]
	;; [unrolled: 1-line block ×3, first 2 shown]
	v_fmac_f64_e32 v[14:15], -0.5, v[46:47]
	v_add_f64 v[48:49], v[50:51], -v[78:79]
	v_add_f64 v[50:51], v[82:83], v[86:87]
	v_add_f64 v[32:33], v[32:33], v[54:55]
	v_fma_f64 v[46:47], s[10:11], v[48:49], v[14:15]
	v_fmac_f64_e32 v[14:15], s[2:3], v[48:49]
	v_add_f64 v[48:49], v[8:9], v[82:83]
	v_fmac_f64_e32 v[8:9], -0.5, v[50:51]
	v_add_f64 v[50:51], v[84:85], -v[88:89]
	v_add_f64 v[54:55], v[84:85], v[88:89]
	v_add_f64 v[26:27], v[26:27], v[56:57]
	v_fma_f64 v[52:53], s[2:3], v[50:51], v[8:9]
	v_fmac_f64_e32 v[8:9], s[10:11], v[50:51]
	v_add_f64 v[50:51], v[10:11], v[84:85]
	;; [unrolled: 7-line block ×3, first 2 shown]
	v_fmac_f64_e32 v[4:5], -0.5, v[58:59]
	v_add_f64 v[58:59], v[96:97], -v[100:101]
	v_add_f64 v[70:71], v[96:97], v[100:101]
	v_fma_f64 v[68:69], s[2:3], v[58:59], v[4:5]
	v_fmac_f64_e32 v[4:5], s[10:11], v[58:59]
	v_add_f64 v[58:59], v[6:7], v[96:97]
	v_fmac_f64_e32 v[6:7], -0.5, v[70:71]
	v_add_f64 v[76:77], v[90:91], -v[98:99]
	v_add_f64 v[40:41], v[40:41], v[78:79]
	v_add_f64 v[42:43], v[42:43], v[80:81]
	;; [unrolled: 1-line block ×6, first 2 shown]
	v_fma_f64 v[70:71], s[10:11], v[76:77], v[6:7]
	v_fmac_f64_e32 v[6:7], s[2:3], v[76:77]
	ds_write_b128 v92, v[24:27]
	ds_write_b128 v95, v[28:31] offset:6400
	ds_write_b128 v95, v[20:23] offset:12800
	;; [unrolled: 1-line block ×14, first 2 shown]
	s_and_saveexec_b64 s[12:13], s[0:1]
	s_cbranch_execz .LBB0_29
; %bb.28:
	v_accvgpr_read_b32 v12, a88
	v_accvgpr_read_b32 v14, a90
	;; [unrolled: 1-line block ×5, first 2 shown]
	v_mul_f64 v[4:5], v[14:15], v[60:61]
	v_accvgpr_read_b32 v20, a94
	v_accvgpr_read_b32 v21, a95
	v_fma_f64 v[6:7], v[12:13], v[62:63], -v[4:5]
	v_accvgpr_read_b32 v19, a93
	v_mul_f64 v[4:5], v[20:21], v[64:65]
	v_fma_f64 v[10:11], v[18:19], v[66:67], -v[4:5]
	v_mul_f64 v[14:15], v[14:15], v[62:63]
	v_mul_f64 v[16:17], v[20:21], v[66:67]
	v_add_f64 v[4:5], v[6:7], v[10:11]
	v_fmac_f64_e32 v[14:15], v[12:13], v[60:61]
	v_fmac_f64_e32 v[16:17], v[18:19], v[64:65]
	v_fma_f64 v[4:5], -0.5, v[4:5], v[2:3]
	v_add_f64 v[12:13], v[14:15], -v[16:17]
	v_add_f64 v[2:3], v[2:3], v[6:7]
	v_fma_f64 v[8:9], s[2:3], v[12:13], v[4:5]
	v_fmac_f64_e32 v[4:5], s[10:11], v[12:13]
	v_add_f64 v[12:13], v[2:3], v[10:11]
	v_add_f64 v[2:3], v[14:15], v[16:17]
	v_fma_f64 v[2:3], -0.5, v[2:3], v[0:1]
	v_add_f64 v[10:11], v[6:7], -v[10:11]
	v_add_f64 v[0:1], v[0:1], v[14:15]
	v_fma_f64 v[6:7], s[10:11], v[10:11], v[2:3]
	v_fmac_f64_e32 v[2:3], s[2:3], v[10:11]
	v_add_f64 v[10:11], v[0:1], v[16:17]
	ds_write_b128 v92, v[10:13] offset:6000
	ds_write_b128 v92, v[2:5] offset:12400
	;; [unrolled: 1-line block ×3, first 2 shown]
.LBB0_29:
	s_or_b64 exec, exec, s[12:13]
	s_waitcnt lgkmcnt(0)
	s_barrier
	ds_read_b128 v[0:3], v92
	v_accvgpr_read_b32 v6, a64
	v_mad_u64_u32 v[14:15], s[0:1], s6, v6, 0
	v_mov_b32_e32 v4, v15
	v_accvgpr_read_b32 v16, a28
	v_mad_u64_u32 v[4:5], s[0:1], s7, v6, v[4:5]
	v_accvgpr_read_b32 v18, a30
	v_accvgpr_read_b32 v19, a31
	v_mov_b32_e32 v15, v4
	ds_read_b128 v[4:7], v92 offset:1200
	v_accvgpr_read_b32 v17, a29
	s_waitcnt lgkmcnt(1)
	v_mul_f64 v[8:9], v[18:19], v[2:3]
	v_fmac_f64_e32 v[8:9], v[16:17], v[0:1]
	v_mul_f64 v[0:1], v[18:19], v[0:1]
	s_mov_b32 s0, 0xb4e81b4f
	v_fma_f64 v[0:1], v[16:17], v[2:3], -v[0:1]
	v_accvgpr_read_b32 v2, a10
	s_mov_b32 s1, 0x3f4b4e81
	v_mad_u64_u32 v[16:17], s[2:3], s4, v2, 0
	v_mul_f64 v[10:11], v[0:1], s[0:1]
	v_mov_b32_e32 v0, v17
	v_mad_u64_u32 v[0:1], s[2:3], s5, v2, v[0:1]
	v_mov_b32_e32 v17, v0
	ds_read_b128 v[0:3], v92 offset:3840
	v_mov_b32_e32 v12, s8
	v_mov_b32_e32 v13, s9
	v_lshl_add_u64 v[12:13], v[14:15], 4, v[12:13]
	v_accvgpr_read_b32 v21, a5
	v_mul_f64 v[8:9], v[8:9], s[0:1]
	v_lshl_add_u64 v[16:17], v[16:17], 4, v[12:13]
	v_accvgpr_read_b32 v20, a4
	global_store_dwordx4 v[16:17], v[8:11], off
	ds_read_b128 v[8:11], v92 offset:2400
	v_accvgpr_read_b32 v19, a3
	v_accvgpr_read_b32 v18, a2
	s_waitcnt lgkmcnt(1)
	v_mul_f64 v[12:13], v[20:21], v[2:3]
	v_fmac_f64_e32 v[12:13], v[18:19], v[0:1]
	v_mul_f64 v[0:1], v[20:21], v[0:1]
	v_fma_f64 v[0:1], v[18:19], v[2:3], -v[0:1]
	v_mul_f64 v[14:15], v[0:1], s[0:1]
	ds_read_b128 v[0:3], v92 offset:7680
	s_mul_i32 s2, s5, 0xf0
	s_mul_hi_u32 s3, s4, 0xf0
	s_add_i32 s3, s3, s2
	s_mul_i32 s2, s4, 0xf0
	s_lshl_b64 s[2:3], s[2:3], 4
	v_accvgpr_read_b32 v25, a15
	v_mul_f64 v[12:13], v[12:13], s[0:1]
	v_lshl_add_u64 v[20:21], v[16:17], 0, s[2:3]
	v_accvgpr_read_b32 v24, a14
	global_store_dwordx4 v[20:21], v[12:15], off
	ds_read_b128 v[12:15], v92 offset:8880
	v_accvgpr_read_b32 v23, a13
	v_accvgpr_read_b32 v22, a12
	s_waitcnt lgkmcnt(1)
	v_mul_f64 v[16:17], v[24:25], v[2:3]
	v_fmac_f64_e32 v[16:17], v[22:23], v[0:1]
	v_mul_f64 v[0:1], v[24:25], v[0:1]
	v_fma_f64 v[18:19], v[22:23], v[2:3], -v[0:1]
	ds_read_b128 v[0:3], v92 offset:11520
	v_accvgpr_read_b32 v29, a9
	v_mul_f64 v[16:17], v[16:17], s[0:1]
	v_mul_f64 v[18:19], v[18:19], s[0:1]
	v_lshl_add_u64 v[24:25], v[20:21], 0, s[2:3]
	v_accvgpr_read_b32 v28, a8
	global_store_dwordx4 v[24:25], v[16:19], off
	ds_read_b128 v[16:19], v92 offset:10080
	v_accvgpr_read_b32 v27, a7
	v_accvgpr_read_b32 v26, a6
	s_waitcnt lgkmcnt(1)
	v_mul_f64 v[20:21], v[28:29], v[2:3]
	v_fmac_f64_e32 v[20:21], v[26:27], v[0:1]
	v_mul_f64 v[0:1], v[28:29], v[0:1]
	v_fma_f64 v[22:23], v[26:27], v[2:3], -v[0:1]
	ds_read_b128 v[0:3], v92 offset:15360
	v_accvgpr_read_b32 v33, a19
	v_mul_f64 v[20:21], v[20:21], s[0:1]
	v_mul_f64 v[22:23], v[22:23], s[0:1]
	v_lshl_add_u64 v[28:29], v[24:25], 0, s[2:3]
	v_accvgpr_read_b32 v32, a18
	global_store_dwordx4 v[28:29], v[20:23], off
	ds_read_b128 v[20:23], v92 offset:16560
	v_accvgpr_read_b32 v31, a17
	v_accvgpr_read_b32 v30, a16
	s_waitcnt lgkmcnt(1)
	v_mul_f64 v[24:25], v[32:33], v[2:3]
	v_fmac_f64_e32 v[24:25], v[30:31], v[0:1]
	v_mul_f64 v[0:1], v[32:33], v[0:1]
	v_fma_f64 v[0:1], v[30:31], v[2:3], -v[0:1]
	v_mul_f64 v[24:25], v[24:25], s[0:1]
	v_mul_f64 v[26:27], v[0:1], s[0:1]
	v_lshl_add_u64 v[28:29], v[28:29], 0, s[2:3]
	global_store_dwordx4 v[28:29], v[24:27], off
	s_mul_hi_u32 s6, s4, 0xfffffc8b
	s_mulk_i32 s5, 0xfc8b
	v_accvgpr_read_b32 v27, a23
	v_accvgpr_read_b32 v26, a22
	v_accvgpr_read_b32 v25, a21
	v_accvgpr_read_b32 v24, a20
	v_mul_f64 v[0:1], v[26:27], v[6:7]
	v_mul_f64 v[2:3], v[26:27], v[4:5]
	v_fmac_f64_e32 v[0:1], v[24:25], v[4:5]
	v_fma_f64 v[2:3], v[24:25], v[6:7], -v[2:3]
	ds_read_b128 v[4:7], v92 offset:5040
	s_sub_i32 s6, s6, s4
	s_add_i32 s5, s6, s5
	s_mulk_i32 s4, 0xfc8b
	s_lshl_b64 s[6:7], s[4:5], 4
	v_accvgpr_read_b32 v33, a27
	v_mul_f64 v[0:1], v[0:1], s[0:1]
	v_mul_f64 v[2:3], v[2:3], s[0:1]
	v_lshl_add_u64 v[28:29], v[28:29], 0, s[6:7]
	v_accvgpr_read_b32 v32, a26
	global_store_dwordx4 v[28:29], v[0:3], off
	ds_read_b128 v[0:3], v92 offset:6240
	v_accvgpr_read_b32 v31, a25
	v_accvgpr_read_b32 v30, a24
	s_waitcnt lgkmcnt(1)
	v_mul_f64 v[24:25], v[32:33], v[6:7]
	v_fmac_f64_e32 v[24:25], v[30:31], v[4:5]
	v_mul_f64 v[4:5], v[32:33], v[4:5]
	v_fma_f64 v[4:5], v[30:31], v[6:7], -v[4:5]
	v_mul_f64 v[24:25], v[24:25], s[0:1]
	v_mul_f64 v[26:27], v[4:5], s[0:1]
	v_lshl_add_u64 v[28:29], v[28:29], 0, s[2:3]
	global_store_dwordx4 v[28:29], v[24:27], off
	v_accvgpr_read_b32 v30, a32
	v_lshl_add_u64 v[28:29], v[28:29], 0, s[2:3]
	v_accvgpr_read_b32 v24, a36
	v_accvgpr_read_b32 v26, a38
	;; [unrolled: 1-line block ×4, first 2 shown]
	v_mul_f64 v[4:5], v[26:27], v[14:15]
	v_mul_f64 v[6:7], v[26:27], v[12:13]
	v_fmac_f64_e32 v[4:5], v[24:25], v[12:13]
	v_fma_f64 v[6:7], v[24:25], v[14:15], -v[6:7]
	ds_read_b128 v[12:15], v92 offset:12720
	v_mul_f64 v[4:5], v[4:5], s[0:1]
	v_mul_f64 v[6:7], v[6:7], s[0:1]
	v_accvgpr_read_b32 v32, a34
	v_accvgpr_read_b32 v33, a35
	global_store_dwordx4 v[28:29], v[4:7], off
	ds_read_b128 v[4:7], v92 offset:13920
	v_accvgpr_read_b32 v31, a33
	s_waitcnt lgkmcnt(1)
	v_mul_f64 v[24:25], v[32:33], v[14:15]
	v_fmac_f64_e32 v[24:25], v[30:31], v[12:13]
	v_mul_f64 v[12:13], v[32:33], v[12:13]
	v_fma_f64 v[12:13], v[30:31], v[14:15], -v[12:13]
	v_mul_f64 v[24:25], v[24:25], s[0:1]
	v_mul_f64 v[26:27], v[12:13], s[0:1]
	v_lshl_add_u64 v[28:29], v[28:29], 0, s[2:3]
	global_store_dwordx4 v[28:29], v[24:27], off
	s_nop 1
	v_accvgpr_read_b32 v24, a40
	v_accvgpr_read_b32 v26, a42
	;; [unrolled: 1-line block ×4, first 2 shown]
	v_mul_f64 v[12:13], v[26:27], v[22:23]
	v_mul_f64 v[14:15], v[26:27], v[20:21]
	v_fmac_f64_e32 v[12:13], v[24:25], v[20:21]
	v_fma_f64 v[14:15], v[24:25], v[22:23], -v[14:15]
	v_accvgpr_read_b32 v22, a44
	v_mul_f64 v[12:13], v[12:13], s[0:1]
	v_mul_f64 v[14:15], v[14:15], s[0:1]
	v_lshl_add_u64 v[20:21], v[28:29], 0, s[2:3]
	v_accvgpr_read_b32 v24, a46
	v_accvgpr_read_b32 v25, a47
	global_store_dwordx4 v[20:21], v[12:15], off
	v_accvgpr_read_b32 v23, a45
	v_lshl_add_u64 v[20:21], v[20:21], 0, s[6:7]
	v_mul_f64 v[12:13], v[24:25], v[10:11]
	v_fmac_f64_e32 v[12:13], v[22:23], v[8:9]
	v_mul_f64 v[8:9], v[24:25], v[8:9]
	v_fma_f64 v[8:9], v[22:23], v[10:11], -v[8:9]
	v_mul_f64 v[12:13], v[12:13], s[0:1]
	v_mul_f64 v[14:15], v[8:9], s[0:1]
	global_store_dwordx4 v[20:21], v[12:15], off
	v_accvgpr_read_b32 v10, a48
	v_accvgpr_read_b32 v11, a49
	v_accvgpr_read_b32 v12, a50
	v_accvgpr_read_b32 v13, a51
	v_mul_f64 v[8:9], v[12:13], v[2:3]
	v_fmac_f64_e32 v[8:9], v[10:11], v[0:1]
	v_mul_f64 v[0:1], v[12:13], v[0:1]
	v_fma_f64 v[0:1], v[10:11], v[2:3], -v[0:1]
	v_mul_f64 v[8:9], v[8:9], s[0:1]
	v_mul_f64 v[10:11], v[0:1], s[0:1]
	v_lshl_add_u64 v[12:13], v[20:21], 0, s[2:3]
	global_store_dwordx4 v[12:13], v[8:11], off
	v_lshl_add_u64 v[12:13], v[12:13], 0, s[2:3]
	s_nop 0
	v_accvgpr_read_b32 v8, a52
	v_accvgpr_read_b32 v10, a54
	v_accvgpr_read_b32 v11, a55
	v_accvgpr_read_b32 v9, a53
	v_mul_f64 v[0:1], v[10:11], v[18:19]
	v_mul_f64 v[2:3], v[10:11], v[16:17]
	v_fmac_f64_e32 v[0:1], v[8:9], v[16:17]
	v_fma_f64 v[2:3], v[8:9], v[18:19], -v[2:3]
	v_accvgpr_read_b32 v14, a56
	ds_read_b128 v[8:11], v92 offset:17760
	v_mul_f64 v[0:1], v[0:1], s[0:1]
	v_mul_f64 v[2:3], v[2:3], s[0:1]
	v_accvgpr_read_b32 v16, a58
	v_accvgpr_read_b32 v17, a59
	global_store_dwordx4 v[12:13], v[0:3], off
	v_accvgpr_read_b32 v15, a57
	s_waitcnt lgkmcnt(1)
	v_mul_f64 v[0:1], v[16:17], v[6:7]
	v_mul_f64 v[2:3], v[16:17], v[4:5]
	v_fmac_f64_e32 v[0:1], v[14:15], v[4:5]
	v_fma_f64 v[2:3], v[14:15], v[6:7], -v[2:3]
	v_lshl_add_u64 v[6:7], v[12:13], 0, s[2:3]
	v_accvgpr_read_b32 v12, a60
	v_mul_f64 v[0:1], v[0:1], s[0:1]
	v_mul_f64 v[2:3], v[2:3], s[0:1]
	v_accvgpr_read_b32 v14, a62
	v_accvgpr_read_b32 v15, a63
	global_store_dwordx4 v[6:7], v[0:3], off
	v_accvgpr_read_b32 v13, a61
	s_waitcnt lgkmcnt(0)
	v_mul_f64 v[0:1], v[14:15], v[10:11]
	v_fmac_f64_e32 v[0:1], v[12:13], v[8:9]
	v_mul_f64 v[2:3], v[0:1], s[0:1]
	v_mul_f64 v[0:1], v[14:15], v[8:9]
	v_fma_f64 v[0:1], v[12:13], v[10:11], -v[0:1]
	v_mul_f64 v[4:5], v[0:1], s[0:1]
	v_lshl_add_u64 v[0:1], v[6:7], 0, s[2:3]
	global_store_dwordx4 v[0:1], v[2:5], off
	s_and_b64 exec, exec, vcc
	s_cbranch_execz .LBB0_31
; %bb.30:
	v_accvgpr_read_b32 v19, a1
	v_accvgpr_read_b32 v18, a0
	global_load_dwordx4 v[2:5], v[18:19], off offset:3600
	ds_read_b128 v[6:9], v95 offset:3600
	v_lshl_add_u64 v[12:13], s[4:5], 4, v[0:1]
	s_movk_i32 s4, 0x1000
	v_add_co_u32_e32 v10, vcc, s4, v18
	s_movk_i32 s4, 0x2000
	s_nop 0
	v_addc_co_u32_e32 v11, vcc, 0, v19, vcc
	v_add_co_u32_e32 v14, vcc, s4, v18
	s_movk_i32 s4, 0x3000
	s_nop 0
	v_addc_co_u32_e32 v15, vcc, 0, v19, vcc
	s_waitcnt vmcnt(0) lgkmcnt(0)
	v_mul_f64 v[0:1], v[8:9], v[4:5]
	v_mul_f64 v[4:5], v[6:7], v[4:5]
	v_fmac_f64_e32 v[0:1], v[6:7], v[2:3]
	v_fma_f64 v[2:3], v[2:3], v[8:9], -v[4:5]
	v_mul_f64 v[0:1], v[0:1], s[0:1]
	v_mul_f64 v[2:3], v[2:3], s[0:1]
	global_store_dwordx4 v[12:13], v[0:3], off
	global_load_dwordx4 v[0:3], v[10:11], off offset:3344
	ds_read_b128 v[4:7], v92 offset:7440
	ds_read_b128 v[8:11], v92 offset:11280
	v_lshl_add_u64 v[12:13], v[12:13], 0, s[2:3]
	s_waitcnt vmcnt(0) lgkmcnt(1)
	v_mul_f64 v[16:17], v[6:7], v[2:3]
	v_mul_f64 v[2:3], v[4:5], v[2:3]
	v_fmac_f64_e32 v[16:17], v[4:5], v[0:1]
	v_fma_f64 v[2:3], v[0:1], v[6:7], -v[2:3]
	v_mul_f64 v[0:1], v[16:17], s[0:1]
	v_mul_f64 v[2:3], v[2:3], s[0:1]
	global_store_dwordx4 v[12:13], v[0:3], off
	global_load_dwordx4 v[0:3], v[14:15], off offset:3088
	v_add_co_u32_e32 v4, vcc, s4, v18
	v_lshl_add_u64 v[12:13], v[12:13], 0, s[2:3]
	s_nop 0
	v_addc_co_u32_e32 v5, vcc, 0, v19, vcc
	s_movk_i32 s4, 0x4000
	v_add_co_u32_e32 v14, vcc, s4, v18
	s_waitcnt vmcnt(0) lgkmcnt(0)
	v_mul_f64 v[6:7], v[10:11], v[2:3]
	v_mul_f64 v[2:3], v[8:9], v[2:3]
	v_fmac_f64_e32 v[6:7], v[8:9], v[0:1]
	v_fma_f64 v[2:3], v[0:1], v[10:11], -v[2:3]
	v_mul_f64 v[0:1], v[6:7], s[0:1]
	v_mul_f64 v[2:3], v[2:3], s[0:1]
	global_store_dwordx4 v[12:13], v[0:3], off
	global_load_dwordx4 v[0:3], v[4:5], off offset:2832
	ds_read_b128 v[4:7], v92 offset:15120
	ds_read_b128 v[8:11], v92 offset:18960
	v_lshl_add_u64 v[12:13], v[12:13], 0, s[2:3]
	v_addc_co_u32_e32 v15, vcc, 0, v19, vcc
	s_waitcnt vmcnt(0) lgkmcnt(1)
	v_mul_f64 v[16:17], v[6:7], v[2:3]
	v_mul_f64 v[2:3], v[4:5], v[2:3]
	v_fmac_f64_e32 v[16:17], v[4:5], v[0:1]
	v_fma_f64 v[2:3], v[0:1], v[6:7], -v[2:3]
	v_mul_f64 v[0:1], v[16:17], s[0:1]
	v_mul_f64 v[2:3], v[2:3], s[0:1]
	global_store_dwordx4 v[12:13], v[0:3], off
	global_load_dwordx4 v[0:3], v[14:15], off offset:2576
	s_waitcnt vmcnt(0) lgkmcnt(0)
	v_mul_f64 v[4:5], v[10:11], v[2:3]
	v_mul_f64 v[2:3], v[8:9], v[2:3]
	v_fmac_f64_e32 v[4:5], v[8:9], v[0:1]
	v_fma_f64 v[2:3], v[0:1], v[10:11], -v[2:3]
	v_mul_f64 v[0:1], v[4:5], s[0:1]
	v_mul_f64 v[2:3], v[2:3], s[0:1]
	v_lshl_add_u64 v[4:5], v[12:13], 0, s[2:3]
	global_store_dwordx4 v[4:5], v[0:3], off
.LBB0_31:
	s_endpgm
	.section	.rodata,"a",@progbits
	.p2align	6, 0x0
	.amdhsa_kernel bluestein_single_back_len1200_dim1_dp_op_CI_CI
		.amdhsa_group_segment_fixed_size 57600
		.amdhsa_private_segment_fixed_size 0
		.amdhsa_kernarg_size 104
		.amdhsa_user_sgpr_count 2
		.amdhsa_user_sgpr_dispatch_ptr 0
		.amdhsa_user_sgpr_queue_ptr 0
		.amdhsa_user_sgpr_kernarg_segment_ptr 1
		.amdhsa_user_sgpr_dispatch_id 0
		.amdhsa_user_sgpr_kernarg_preload_length 0
		.amdhsa_user_sgpr_kernarg_preload_offset 0
		.amdhsa_user_sgpr_private_segment_size 0
		.amdhsa_uses_dynamic_stack 0
		.amdhsa_enable_private_segment 0
		.amdhsa_system_sgpr_workgroup_id_x 1
		.amdhsa_system_sgpr_workgroup_id_y 0
		.amdhsa_system_sgpr_workgroup_id_z 0
		.amdhsa_system_sgpr_workgroup_info 0
		.amdhsa_system_vgpr_workitem_id 0
		.amdhsa_next_free_vgpr 352
		.amdhsa_next_free_sgpr 22
		.amdhsa_accum_offset 256
		.amdhsa_reserve_vcc 1
		.amdhsa_float_round_mode_32 0
		.amdhsa_float_round_mode_16_64 0
		.amdhsa_float_denorm_mode_32 3
		.amdhsa_float_denorm_mode_16_64 3
		.amdhsa_dx10_clamp 1
		.amdhsa_ieee_mode 1
		.amdhsa_fp16_overflow 0
		.amdhsa_tg_split 0
		.amdhsa_exception_fp_ieee_invalid_op 0
		.amdhsa_exception_fp_denorm_src 0
		.amdhsa_exception_fp_ieee_div_zero 0
		.amdhsa_exception_fp_ieee_overflow 0
		.amdhsa_exception_fp_ieee_underflow 0
		.amdhsa_exception_fp_ieee_inexact 0
		.amdhsa_exception_int_div_zero 0
	.end_amdhsa_kernel
	.text
.Lfunc_end0:
	.size	bluestein_single_back_len1200_dim1_dp_op_CI_CI, .Lfunc_end0-bluestein_single_back_len1200_dim1_dp_op_CI_CI
                                        ; -- End function
	.section	.AMDGPU.csdata,"",@progbits
; Kernel info:
; codeLenInByte = 22508
; NumSgprs: 28
; NumVgprs: 256
; NumAgprs: 96
; TotalNumVgprs: 352
; ScratchSize: 0
; MemoryBound: 0
; FloatMode: 240
; IeeeMode: 1
; LDSByteSize: 57600 bytes/workgroup (compile time only)
; SGPRBlocks: 3
; VGPRBlocks: 43
; NumSGPRsForWavesPerEU: 28
; NumVGPRsForWavesPerEU: 352
; AccumOffset: 256
; Occupancy: 1
; WaveLimiterHint : 1
; COMPUTE_PGM_RSRC2:SCRATCH_EN: 0
; COMPUTE_PGM_RSRC2:USER_SGPR: 2
; COMPUTE_PGM_RSRC2:TRAP_HANDLER: 0
; COMPUTE_PGM_RSRC2:TGID_X_EN: 1
; COMPUTE_PGM_RSRC2:TGID_Y_EN: 0
; COMPUTE_PGM_RSRC2:TGID_Z_EN: 0
; COMPUTE_PGM_RSRC2:TIDIG_COMP_CNT: 0
; COMPUTE_PGM_RSRC3_GFX90A:ACCUM_OFFSET: 63
; COMPUTE_PGM_RSRC3_GFX90A:TG_SPLIT: 0
	.text
	.p2alignl 6, 3212836864
	.fill 256, 4, 3212836864
	.type	__hip_cuid_2cc2231fc1b3957f,@object ; @__hip_cuid_2cc2231fc1b3957f
	.section	.bss,"aw",@nobits
	.globl	__hip_cuid_2cc2231fc1b3957f
__hip_cuid_2cc2231fc1b3957f:
	.byte	0                               ; 0x0
	.size	__hip_cuid_2cc2231fc1b3957f, 1

	.ident	"AMD clang version 19.0.0git (https://github.com/RadeonOpenCompute/llvm-project roc-6.4.0 25133 c7fe45cf4b819c5991fe208aaa96edf142730f1d)"
	.section	".note.GNU-stack","",@progbits
	.addrsig
	.addrsig_sym __hip_cuid_2cc2231fc1b3957f
	.amdgpu_metadata
---
amdhsa.kernels:
  - .agpr_count:     96
    .args:
      - .actual_access:  read_only
        .address_space:  global
        .offset:         0
        .size:           8
        .value_kind:     global_buffer
      - .actual_access:  read_only
        .address_space:  global
        .offset:         8
        .size:           8
        .value_kind:     global_buffer
      - .actual_access:  read_only
        .address_space:  global
        .offset:         16
        .size:           8
        .value_kind:     global_buffer
      - .actual_access:  read_only
        .address_space:  global
        .offset:         24
        .size:           8
        .value_kind:     global_buffer
      - .actual_access:  read_only
        .address_space:  global
        .offset:         32
        .size:           8
        .value_kind:     global_buffer
      - .offset:         40
        .size:           8
        .value_kind:     by_value
      - .address_space:  global
        .offset:         48
        .size:           8
        .value_kind:     global_buffer
      - .address_space:  global
        .offset:         56
        .size:           8
        .value_kind:     global_buffer
      - .address_space:  global
        .offset:         64
        .size:           8
        .value_kind:     global_buffer
      - .address_space:  global
        .offset:         72
        .size:           8
        .value_kind:     global_buffer
      - .offset:         80
        .size:           4
        .value_kind:     by_value
      - .address_space:  global
        .offset:         88
        .size:           8
        .value_kind:     global_buffer
      - .address_space:  global
        .offset:         96
        .size:           8
        .value_kind:     global_buffer
    .group_segment_fixed_size: 57600
    .kernarg_segment_align: 8
    .kernarg_segment_size: 104
    .language:       OpenCL C
    .language_version:
      - 2
      - 0
    .max_flat_workgroup_size: 225
    .name:           bluestein_single_back_len1200_dim1_dp_op_CI_CI
    .private_segment_fixed_size: 0
    .sgpr_count:     28
    .sgpr_spill_count: 0
    .symbol:         bluestein_single_back_len1200_dim1_dp_op_CI_CI.kd
    .uniform_work_group_size: 1
    .uses_dynamic_stack: false
    .vgpr_count:     352
    .vgpr_spill_count: 0
    .wavefront_size: 64
amdhsa.target:   amdgcn-amd-amdhsa--gfx950
amdhsa.version:
  - 1
  - 2
...

	.end_amdgpu_metadata
